;; amdgpu-corpus repo=ROCm/rocFFT kind=compiled arch=gfx906 opt=O3
	.text
	.amdgcn_target "amdgcn-amd-amdhsa--gfx906"
	.amdhsa_code_object_version 6
	.protected	fft_rtc_back_len864_factors_3_6_16_3_wgs_54_tpt_54_halfLds_half_ip_CI_unitstride_sbrr_R2C_dirReg ; -- Begin function fft_rtc_back_len864_factors_3_6_16_3_wgs_54_tpt_54_halfLds_half_ip_CI_unitstride_sbrr_R2C_dirReg
	.globl	fft_rtc_back_len864_factors_3_6_16_3_wgs_54_tpt_54_halfLds_half_ip_CI_unitstride_sbrr_R2C_dirReg
	.p2align	8
	.type	fft_rtc_back_len864_factors_3_6_16_3_wgs_54_tpt_54_halfLds_half_ip_CI_unitstride_sbrr_R2C_dirReg,@function
fft_rtc_back_len864_factors_3_6_16_3_wgs_54_tpt_54_halfLds_half_ip_CI_unitstride_sbrr_R2C_dirReg: ; @fft_rtc_back_len864_factors_3_6_16_3_wgs_54_tpt_54_halfLds_half_ip_CI_unitstride_sbrr_R2C_dirReg
; %bb.0:
	s_load_dwordx2 s[12:13], s[4:5], 0x50
	s_load_dwordx4 s[8:11], s[4:5], 0x0
	s_load_dwordx2 s[2:3], s[4:5], 0x18
	v_mul_u32_u24_e32 v1, 0x4be, v0
	v_add_u32_sdwa v5, s6, v1 dst_sel:DWORD dst_unused:UNUSED_PAD src0_sel:DWORD src1_sel:WORD_1
	v_mov_b32_e32 v3, 0
	s_waitcnt lgkmcnt(0)
	v_cmp_lt_u64_e64 s[0:1], s[10:11], 2
	v_mov_b32_e32 v1, 0
	v_mov_b32_e32 v6, v3
	s_and_b64 vcc, exec, s[0:1]
	v_mov_b32_e32 v2, 0
	s_cbranch_vccnz .LBB0_8
; %bb.1:
	s_load_dwordx2 s[0:1], s[4:5], 0x10
	s_add_u32 s6, s2, 8
	s_addc_u32 s7, s3, 0
	v_mov_b32_e32 v1, 0
	v_mov_b32_e32 v2, 0
	s_waitcnt lgkmcnt(0)
	s_add_u32 s14, s0, 8
	s_addc_u32 s15, s1, 0
	s_mov_b64 s[16:17], 1
.LBB0_2:                                ; =>This Inner Loop Header: Depth=1
	s_load_dwordx2 s[18:19], s[14:15], 0x0
                                        ; implicit-def: $vgpr7_vgpr8
	s_waitcnt lgkmcnt(0)
	v_or_b32_e32 v4, s19, v6
	v_cmp_ne_u64_e32 vcc, 0, v[3:4]
	s_and_saveexec_b64 s[0:1], vcc
	s_xor_b64 s[20:21], exec, s[0:1]
	s_cbranch_execz .LBB0_4
; %bb.3:                                ;   in Loop: Header=BB0_2 Depth=1
	v_cvt_f32_u32_e32 v4, s18
	v_cvt_f32_u32_e32 v7, s19
	s_sub_u32 s0, 0, s18
	s_subb_u32 s1, 0, s19
	v_mac_f32_e32 v4, 0x4f800000, v7
	v_rcp_f32_e32 v4, v4
	v_mul_f32_e32 v4, 0x5f7ffffc, v4
	v_mul_f32_e32 v7, 0x2f800000, v4
	v_trunc_f32_e32 v7, v7
	v_mac_f32_e32 v4, 0xcf800000, v7
	v_cvt_u32_f32_e32 v7, v7
	v_cvt_u32_f32_e32 v4, v4
	v_mul_lo_u32 v8, s0, v7
	v_mul_hi_u32 v9, s0, v4
	v_mul_lo_u32 v11, s1, v4
	v_mul_lo_u32 v10, s0, v4
	v_add_u32_e32 v8, v9, v8
	v_add_u32_e32 v8, v8, v11
	v_mul_hi_u32 v9, v4, v10
	v_mul_lo_u32 v11, v4, v8
	v_mul_hi_u32 v13, v4, v8
	v_mul_hi_u32 v12, v7, v10
	v_mul_lo_u32 v10, v7, v10
	v_mul_hi_u32 v14, v7, v8
	v_add_co_u32_e32 v9, vcc, v9, v11
	v_addc_co_u32_e32 v11, vcc, 0, v13, vcc
	v_mul_lo_u32 v8, v7, v8
	v_add_co_u32_e32 v9, vcc, v9, v10
	v_addc_co_u32_e32 v9, vcc, v11, v12, vcc
	v_addc_co_u32_e32 v10, vcc, 0, v14, vcc
	v_add_co_u32_e32 v8, vcc, v9, v8
	v_addc_co_u32_e32 v9, vcc, 0, v10, vcc
	v_add_co_u32_e32 v4, vcc, v4, v8
	v_addc_co_u32_e32 v7, vcc, v7, v9, vcc
	v_mul_lo_u32 v8, s0, v7
	v_mul_hi_u32 v9, s0, v4
	v_mul_lo_u32 v10, s1, v4
	v_mul_lo_u32 v11, s0, v4
	v_add_u32_e32 v8, v9, v8
	v_add_u32_e32 v8, v8, v10
	v_mul_lo_u32 v12, v4, v8
	v_mul_hi_u32 v13, v4, v11
	v_mul_hi_u32 v14, v4, v8
	;; [unrolled: 1-line block ×3, first 2 shown]
	v_mul_lo_u32 v11, v7, v11
	v_mul_hi_u32 v9, v7, v8
	v_add_co_u32_e32 v12, vcc, v13, v12
	v_addc_co_u32_e32 v13, vcc, 0, v14, vcc
	v_mul_lo_u32 v8, v7, v8
	v_add_co_u32_e32 v11, vcc, v12, v11
	v_addc_co_u32_e32 v10, vcc, v13, v10, vcc
	v_addc_co_u32_e32 v9, vcc, 0, v9, vcc
	v_add_co_u32_e32 v8, vcc, v10, v8
	v_addc_co_u32_e32 v9, vcc, 0, v9, vcc
	v_add_co_u32_e32 v4, vcc, v4, v8
	v_addc_co_u32_e32 v9, vcc, v7, v9, vcc
	v_mad_u64_u32 v[7:8], s[0:1], v5, v9, 0
	v_mul_hi_u32 v10, v5, v4
	v_add_co_u32_e32 v11, vcc, v10, v7
	v_addc_co_u32_e32 v12, vcc, 0, v8, vcc
	v_mad_u64_u32 v[7:8], s[0:1], v6, v4, 0
	v_mad_u64_u32 v[9:10], s[0:1], v6, v9, 0
	v_add_co_u32_e32 v4, vcc, v11, v7
	v_addc_co_u32_e32 v4, vcc, v12, v8, vcc
	v_addc_co_u32_e32 v7, vcc, 0, v10, vcc
	v_add_co_u32_e32 v4, vcc, v4, v9
	v_addc_co_u32_e32 v9, vcc, 0, v7, vcc
	v_mul_lo_u32 v10, s19, v4
	v_mul_lo_u32 v11, s18, v9
	v_mad_u64_u32 v[7:8], s[0:1], s18, v4, 0
	v_add3_u32 v8, v8, v11, v10
	v_sub_u32_e32 v10, v6, v8
	v_mov_b32_e32 v11, s19
	v_sub_co_u32_e32 v7, vcc, v5, v7
	v_subb_co_u32_e64 v10, s[0:1], v10, v11, vcc
	v_subrev_co_u32_e64 v11, s[0:1], s18, v7
	v_subbrev_co_u32_e64 v10, s[0:1], 0, v10, s[0:1]
	v_cmp_le_u32_e64 s[0:1], s19, v10
	v_cndmask_b32_e64 v12, 0, -1, s[0:1]
	v_cmp_le_u32_e64 s[0:1], s18, v11
	v_cndmask_b32_e64 v11, 0, -1, s[0:1]
	v_cmp_eq_u32_e64 s[0:1], s19, v10
	v_cndmask_b32_e64 v10, v12, v11, s[0:1]
	v_add_co_u32_e64 v11, s[0:1], 2, v4
	v_addc_co_u32_e64 v12, s[0:1], 0, v9, s[0:1]
	v_add_co_u32_e64 v13, s[0:1], 1, v4
	v_addc_co_u32_e64 v14, s[0:1], 0, v9, s[0:1]
	v_subb_co_u32_e32 v8, vcc, v6, v8, vcc
	v_cmp_ne_u32_e64 s[0:1], 0, v10
	v_cmp_le_u32_e32 vcc, s19, v8
	v_cndmask_b32_e64 v10, v14, v12, s[0:1]
	v_cndmask_b32_e64 v12, 0, -1, vcc
	v_cmp_le_u32_e32 vcc, s18, v7
	v_cndmask_b32_e64 v7, 0, -1, vcc
	v_cmp_eq_u32_e32 vcc, s19, v8
	v_cndmask_b32_e32 v7, v12, v7, vcc
	v_cmp_ne_u32_e32 vcc, 0, v7
	v_cndmask_b32_e64 v7, v13, v11, s[0:1]
	v_cndmask_b32_e32 v8, v9, v10, vcc
	v_cndmask_b32_e32 v7, v4, v7, vcc
.LBB0_4:                                ;   in Loop: Header=BB0_2 Depth=1
	s_andn2_saveexec_b64 s[0:1], s[20:21]
	s_cbranch_execz .LBB0_6
; %bb.5:                                ;   in Loop: Header=BB0_2 Depth=1
	v_cvt_f32_u32_e32 v4, s18
	s_sub_i32 s20, 0, s18
	v_rcp_iflag_f32_e32 v4, v4
	v_mul_f32_e32 v4, 0x4f7ffffe, v4
	v_cvt_u32_f32_e32 v4, v4
	v_mul_lo_u32 v7, s20, v4
	v_mul_hi_u32 v7, v4, v7
	v_add_u32_e32 v4, v4, v7
	v_mul_hi_u32 v4, v5, v4
	v_mul_lo_u32 v7, v4, s18
	v_add_u32_e32 v8, 1, v4
	v_sub_u32_e32 v7, v5, v7
	v_subrev_u32_e32 v9, s18, v7
	v_cmp_le_u32_e32 vcc, s18, v7
	v_cndmask_b32_e32 v7, v7, v9, vcc
	v_cndmask_b32_e32 v4, v4, v8, vcc
	v_add_u32_e32 v8, 1, v4
	v_cmp_le_u32_e32 vcc, s18, v7
	v_cndmask_b32_e32 v7, v4, v8, vcc
	v_mov_b32_e32 v8, v3
.LBB0_6:                                ;   in Loop: Header=BB0_2 Depth=1
	s_or_b64 exec, exec, s[0:1]
	v_mul_lo_u32 v4, v8, s18
	v_mul_lo_u32 v11, v7, s19
	v_mad_u64_u32 v[9:10], s[0:1], v7, s18, 0
	s_load_dwordx2 s[0:1], s[6:7], 0x0
	s_add_u32 s16, s16, 1
	v_add3_u32 v4, v10, v11, v4
	v_sub_co_u32_e32 v5, vcc, v5, v9
	v_subb_co_u32_e32 v4, vcc, v6, v4, vcc
	s_waitcnt lgkmcnt(0)
	v_mul_lo_u32 v4, s0, v4
	v_mul_lo_u32 v6, s1, v5
	v_mad_u64_u32 v[1:2], s[0:1], s0, v5, v[1:2]
	s_addc_u32 s17, s17, 0
	s_add_u32 s6, s6, 8
	v_add3_u32 v2, v6, v2, v4
	v_mov_b32_e32 v4, s10
	v_mov_b32_e32 v5, s11
	s_addc_u32 s7, s7, 0
	v_cmp_ge_u64_e32 vcc, s[16:17], v[4:5]
	s_add_u32 s14, s14, 8
	s_addc_u32 s15, s15, 0
	s_cbranch_vccnz .LBB0_9
; %bb.7:                                ;   in Loop: Header=BB0_2 Depth=1
	v_mov_b32_e32 v5, v7
	v_mov_b32_e32 v6, v8
	s_branch .LBB0_2
.LBB0_8:
	v_mov_b32_e32 v8, v6
	v_mov_b32_e32 v7, v5
.LBB0_9:
	s_lshl_b64 s[0:1], s[10:11], 3
	s_add_u32 s0, s2, s0
	s_addc_u32 s1, s3, s1
	s_load_dwordx2 s[2:3], s[0:1], 0x0
	s_load_dwordx2 s[6:7], s[4:5], 0x20
                                        ; implicit-def: $vgpr10
                                        ; implicit-def: $vgpr9
                                        ; implicit-def: $vgpr6
	s_waitcnt lgkmcnt(0)
	v_mad_u64_u32 v[1:2], s[0:1], s2, v7, v[1:2]
	s_mov_b32 s0, 0x4bda130
	v_mul_lo_u32 v3, s2, v8
	v_mul_lo_u32 v4, s3, v7
	v_mul_hi_u32 v5, v0, s0
	v_cmp_gt_u64_e32 vcc, s[6:7], v[7:8]
	v_cmp_le_u64_e64 s[0:1], s[6:7], v[7:8]
	v_add3_u32 v2, v4, v2, v3
	v_mul_u32_u24_e32 v3, 54, v5
	v_sub_u32_e32 v0, v0, v3
	v_add_u32_e32 v4, 54, v0
                                        ; implicit-def: $vgpr8
	s_and_saveexec_b64 s[2:3], s[0:1]
	s_xor_b64 s[0:1], exec, s[2:3]
; %bb.10:
	v_add_u32_e32 v4, 54, v0
	v_add_u32_e32 v10, 0x6c, v0
	;; [unrolled: 1-line block ×5, first 2 shown]
; %bb.11:
	s_or_saveexec_b64 s[2:3], s[0:1]
	v_lshlrev_b64 v[2:3], 2, v[1:2]
	v_lshl_add_u32 v25, v0, 2, 0
	s_xor_b64 exec, exec, s[2:3]
	s_cbranch_execz .LBB0_13
; %bb.12:
	v_mov_b32_e32 v1, 0
	v_mov_b32_e32 v5, s13
	v_add_co_u32_e64 v7, s[0:1], s12, v2
	v_addc_co_u32_e64 v8, s[0:1], v5, v3, s[0:1]
	v_lshlrev_b64 v[5:6], 2, v[0:1]
	v_add_u32_e32 v10, 0x6c, v0
	v_add_co_u32_e64 v5, s[0:1], v7, v5
	v_addc_co_u32_e64 v6, s[0:1], v8, v6, s[0:1]
	global_load_dword v1, v[5:6], off
	global_load_dword v7, v[5:6], off offset:216
	global_load_dword v11, v[5:6], off offset:432
	;; [unrolled: 1-line block ×14, first 2 shown]
	s_nop 0
	global_load_dword v5, v[5:6], off offset:3240
	v_add_u32_e32 v9, 0xa2, v0
	v_add_u32_e32 v6, 0xd8, v0
	;; [unrolled: 1-line block ×7, first 2 shown]
	s_waitcnt vmcnt(14)
	ds_write2_b32 v25, v1, v7 offset1:54
	s_waitcnt vmcnt(12)
	ds_write2_b32 v25, v11, v12 offset0:108 offset1:162
	s_waitcnt vmcnt(10)
	ds_write2_b32 v24, v13, v14 offset0:88 offset1:142
	;; [unrolled: 2-line block ×7, first 2 shown]
.LBB0_13:
	s_or_b64 exec, exec, s[2:3]
	v_add_u32_e32 v13, 0x400, v25
	v_add_u32_e32 v1, 0x800, v25
	s_waitcnt lgkmcnt(0)
	; wave barrier
	s_waitcnt lgkmcnt(0)
	ds_read2_b32 v[11:12], v25 offset0:108 offset1:162
	ds_read2_b32 v[14:15], v13 offset0:140 offset1:194
	ds_read2_b32 v[16:17], v1 offset0:172 offset1:226
	ds_read2_b32 v[18:19], v25 offset1:54
	ds_read2_b32 v[20:21], v13 offset0:32 offset1:86
	s_movk_i32 s0, 0x3aee
	s_mov_b32 s4, 0xffff
	s_waitcnt lgkmcnt(3)
	v_pk_add_f16 v5, v12, v15
	v_pk_add_f16 v7, v11, v14
	s_waitcnt lgkmcnt(2)
	v_pk_add_f16 v24, v14, v16
	v_pk_add_f16 v27, v14, v16 neg_lo:[0,1] neg_hi:[0,1]
	v_pk_add_f16 v28, v15, v17
	v_pk_add_f16 v29, v15, v17 neg_lo:[0,1] neg_hi:[0,1]
	ds_read2_b32 v[14:15], v1 offset0:64 offset1:118
	v_pk_add_f16 v5, v5, v17
	v_pk_add_f16 v7, v7, v16
	s_waitcnt lgkmcnt(1)
	v_pk_add_f16 v16, v19, v21
	v_pk_add_f16 v17, v18, v20
	s_waitcnt lgkmcnt(0)
	v_pk_add_f16 v22, v20, v14
	v_pk_add_f16 v20, v20, v14 neg_lo:[0,1] neg_hi:[0,1]
	v_pk_add_f16 v26, v21, v15
	v_pk_add_f16 v30, v21, v15 neg_lo:[0,1] neg_hi:[0,1]
	v_pk_add_f16 v31, v16, v15
	v_pk_add_f16 v32, v17, v14
	v_pk_fma_f16 v14, v22, 0.5, v18 op_sel_hi:[1,0,1] neg_lo:[1,0,0] neg_hi:[1,0,0]
	v_pk_mul_f16 v15, v20, s0 op_sel_hi:[1,0]
	v_pk_add_f16 v18, v14, v15 op_sel:[0,1] op_sel_hi:[1,0] neg_lo:[0,1] neg_hi:[0,1]
	v_pk_add_f16 v33, v14, v15 op_sel:[0,1] op_sel_hi:[1,0]
	v_add_u32_e32 v16, 0xc00, v25
	v_lshl_add_u32 v34, v0, 3, v25
	v_bfi_b32 v35, s4, v18, v33
	v_bfi_b32 v18, s4, v33, v18
	v_add_u32_e32 v15, 0x200, v25
	v_add_u32_e32 v14, 0x600, v25
	ds_read2_b32 v[16:17], v16 offset0:24 offset1:78
	ds_read2_b32 v[20:21], v15 offset0:88 offset1:142
	;; [unrolled: 1-line block ×3, first 2 shown]
	s_waitcnt lgkmcnt(0)
	; wave barrier
	s_waitcnt lgkmcnt(0)
	ds_write_b32 v34, v18 offset:8
	v_pk_fma_f16 v18, v26, 0.5, v19 op_sel_hi:[1,0,1] neg_lo:[1,0,0] neg_hi:[1,0,0]
	v_pk_mul_f16 v19, v30, s0 op_sel_hi:[1,0]
	v_pk_add_f16 v30, v18, v19 op_sel:[0,1] op_sel_hi:[1,0] neg_lo:[0,1] neg_hi:[0,1]
	v_pk_add_f16 v18, v18, v19 op_sel:[0,1] op_sel_hi:[1,0]
	v_mad_i32_i24 v26, v4, 12, 0
	v_bfi_b32 v19, s4, v30, v18
	v_bfi_b32 v18, s4, v18, v30
	ds_write2_b32 v34, v32, v35 offset1:1
	ds_write_b32 v26, v18 offset:8
	v_pk_fma_f16 v11, v24, 0.5, v11 op_sel_hi:[1,0,1] neg_lo:[1,0,0] neg_hi:[1,0,0]
	v_pk_mul_f16 v18, v27, s0 op_sel_hi:[1,0]
	ds_write2_b32 v26, v31, v19 offset1:1
	v_pk_add_f16 v19, v11, v18 op_sel:[0,1] op_sel_hi:[1,0] neg_lo:[0,1] neg_hi:[0,1]
	v_pk_add_f16 v11, v11, v18 op_sel:[0,1] op_sel_hi:[1,0]
	v_mad_i32_i24 v24, v10, 12, 0
	v_bfi_b32 v18, s4, v19, v11
	v_bfi_b32 v11, s4, v11, v19
	ds_write2_b32 v24, v7, v18 offset1:1
	v_pk_fma_f16 v7, v28, 0.5, v12 op_sel_hi:[1,0,1] neg_lo:[1,0,0] neg_hi:[1,0,0]
	ds_write_b32 v24, v11 offset:8
	v_pk_mul_f16 v11, v29, s0 op_sel_hi:[1,0]
	v_pk_add_f16 v12, v7, v11 op_sel:[0,1] op_sel_hi:[1,0] neg_lo:[0,1] neg_hi:[0,1]
	v_pk_add_f16 v7, v7, v11 op_sel:[0,1] op_sel_hi:[1,0]
	v_mad_i32_i24 v11, v9, 12, 0
	v_bfi_b32 v18, s4, v12, v7
	ds_write2_b32 v11, v5, v18 offset1:1
	v_bfi_b32 v5, s4, v7, v12
	ds_write_b32 v11, v5 offset:8
	v_pk_add_f16 v5, v22, v16
	v_pk_fma_f16 v5, v5, 0.5, v20 op_sel_hi:[1,0,1] neg_lo:[1,0,0] neg_hi:[1,0,0]
	v_pk_add_f16 v7, v22, v16 neg_lo:[0,1] neg_hi:[0,1]
	v_pk_fma_f16 v33, v7, s0, v5 op_sel:[0,0,1] op_sel_hi:[1,0,0] neg_lo:[1,0,0] neg_hi:[1,0,0]
	v_pk_fma_f16 v34, v7, s0, v5 op_sel:[0,0,1] op_sel_hi:[1,0,0]
	v_mad_i32_i24 v5, v6, 12, 0
	v_alignbit_b32 v7, v33, v34, 16
	v_alignbit_b32 v11, v34, v33, 16
	ds_write2_b32 v5, v11, v7 offset0:1 offset1:2
	v_pk_add_f16 v7, v23, v17
	v_pk_add_f16 v11, v20, v22
	v_pk_add_f16 v18, v23, v17 neg_lo:[0,1] neg_hi:[0,1]
	v_pk_fma_f16 v7, v7, 0.5, v21 op_sel_hi:[1,0,1] neg_lo:[1,0,0] neg_hi:[1,0,0]
	v_pk_add_f16 v27, v11, v16
	v_pk_mul_f16 v11, v18, s0 op_sel_hi:[1,0]
	v_pk_add_f16 v12, v21, v23
	v_pk_add_f16 v22, v7, v11 op_sel:[0,1] op_sel_hi:[1,0] neg_lo:[0,1] neg_hi:[0,1]
	v_pk_add_f16 v21, v12, v17
	v_pk_add_f16 v7, v7, v11 op_sel:[0,1] op_sel_hi:[1,0]
	ds_write_b32 v5, v27
	v_cmp_gt_u32_e64 s[0:1], 18, v0
	v_lshrrev_b32_e32 v5, 16, v22
	s_and_saveexec_b64 s[2:3], s[0:1]
	s_cbranch_execz .LBB0_15
; %bb.14:
	v_bfi_b32 v12, s4, v22, v7
	s_mov_b32 s4, 0x5040100
	v_mad_i32_i24 v11, v8, 12, 0
	v_perm_b32 v16, v5, v7, s4
	ds_write_b32 v11, v21
	ds_write2_b32 v11, v12, v16 offset0:1 offset1:2
.LBB0_15:
	s_or_b64 exec, exec, s[2:3]
	s_waitcnt lgkmcnt(0)
	; wave barrier
	s_waitcnt lgkmcnt(0)
	ds_read2_b32 v[11:12], v25 offset1:144
	ds_read2_b32 v[19:20], v15 offset0:70 offset1:160
	ds_read2_b32 v[17:18], v13 offset0:86 offset1:176
	;; [unrolled: 1-line block ×4, first 2 shown]
	v_lshlrev_b32_e32 v1, 3, v4
	v_sub_u32_e32 v23, v26, v1
	ds_read_b32 v28, v23
	ds_read_b32 v29, v25 offset:3096
	v_lshrrev_b32_e32 v23, 16, v33
	v_cmp_gt_u32_e64 s[2:3], 36, v0
	s_and_saveexec_b64 s[4:5], s[2:3]
	s_cbranch_execz .LBB0_17
; %bb.16:
	v_lshlrev_b32_e32 v5, 3, v10
	v_sub_u32_e32 v5, v24, v5
	v_add_u32_e32 v7, 0x300, v25
	ds_read2_b32 v[23:24], v7 offset0:60 offset1:204
	ds_read_b32 v7, v25 offset:3312
	ds_read_b32 v27, v5
	v_add_u32_e32 v5, 0x800, v25
	ds_read2_b32 v[21:22], v5 offset0:28 offset1:172
	s_mov_b32 s6, 0xffff
	s_waitcnt lgkmcnt(3)
	v_lshrrev_b32_e32 v33, 16, v24
	s_waitcnt lgkmcnt(2)
	v_lshrrev_b32_e32 v5, 16, v7
	v_alignbit_b32 v34, v24, v23, 16
	s_waitcnt lgkmcnt(0)
	v_bfi_b32 v7, s6, v7, v22
.LBB0_17:
	s_or_b64 exec, exec, s[4:5]
	s_movk_i32 s4, 0xab
	v_mul_lo_u16_sdwa v24, v10, s4 dst_sel:DWORD dst_unused:UNUSED_PAD src0_sel:BYTE_0 src1_sel:DWORD
	v_lshrrev_b16_e32 v24, 9, v24
	v_mul_lo_u16_e32 v30, 3, v24
	v_mov_b32_e32 v40, 5
	v_sub_u16_e32 v30, v10, v30
	v_mul_u32_u24_sdwa v31, v30, v40 dst_sel:DWORD dst_unused:UNUSED_PAD src0_sel:BYTE_0 src1_sel:DWORD
	v_lshlrev_b32_e32 v31, 2, v31
	global_load_dword v41, v31, s[8:9] offset:16
	global_load_dwordx4 v[35:38], v31, s[8:9]
	v_lshrrev_b32_e32 v42, 16, v21
	v_lshrrev_b32_e32 v43, 16, v7
	s_waitcnt lgkmcnt(5)
	v_lshrrev_b32_e32 v47, 16, v20
	s_waitcnt lgkmcnt(4)
	;; [unrolled: 2-line block ×3, first 2 shown]
	v_lshrrev_b32_e32 v51, 16, v16
	v_lshrrev_b32_e32 v53, 16, v17
	;; [unrolled: 1-line block ×3, first 2 shown]
	s_mov_b32 s5, 0xbaee
	s_waitcnt vmcnt(0)
	v_mul_f16_sdwa v31, v34, v35 dst_sel:DWORD dst_unused:UNUSED_PAD src0_sel:DWORD src1_sel:WORD_1
	v_fma_f16 v31, v23, v35, v31
	v_mul_f16_sdwa v39, v23, v35 dst_sel:DWORD dst_unused:UNUSED_PAD src0_sel:DWORD src1_sel:WORD_1
	v_mul_f16_sdwa v23, v42, v37 dst_sel:DWORD dst_unused:UNUSED_PAD src0_sel:DWORD src1_sel:WORD_1
	;; [unrolled: 1-line block ×3, first 2 shown]
	v_fma_f16 v23, v21, v37, v23
	v_fma_f16 v32, v22, v38, v32
	v_mul_f16_sdwa v44, v21, v37 dst_sel:DWORD dst_unused:UNUSED_PAD src0_sel:DWORD src1_sel:WORD_1
	v_mul_f16_sdwa v45, v22, v38 dst_sel:DWORD dst_unused:UNUSED_PAD src0_sel:DWORD src1_sel:WORD_1
	v_fma_f16 v21, v34, v35, -v39
	v_lshrrev_b32_e32 v34, 16, v34
	v_mul_f16_sdwa v22, v33, v36 dst_sel:DWORD dst_unused:UNUSED_PAD src0_sel:DWORD src1_sel:WORD_1
	v_fma_f16 v22, v34, v36, v22
	v_mul_f16_sdwa v34, v34, v36 dst_sel:DWORD dst_unused:UNUSED_PAD src0_sel:DWORD src1_sel:WORD_1
	v_fma_f16 v34, v33, v36, -v34
	v_mul_lo_u16_sdwa v36, v0, s4 dst_sel:DWORD dst_unused:UNUSED_PAD src0_sel:BYTE_0 src1_sel:DWORD
	v_fma_f16 v33, v42, v37, -v44
	v_lshrrev_b16_e32 v42, 9, v36
	v_mul_lo_u16_e32 v36, 3, v42
	v_fma_f16 v35, v43, v38, -v45
	v_sub_u16_e32 v43, v0, v36
	v_mul_u32_u24_sdwa v36, v43, v40 dst_sel:DWORD dst_unused:UNUSED_PAD src0_sel:BYTE_0 src1_sel:DWORD
	v_lshlrev_b32_e32 v44, 2, v36
	global_load_dword v46, v44, s[8:9] offset:16
	global_load_dwordx4 v[36:39], v44, s[8:9]
	v_lshrrev_b32_e32 v45, 16, v12
	v_mul_u32_u24_e32 v42, 0x48, v42
	s_waitcnt vmcnt(0)
	v_mul_f16_sdwa v44, v36, v12 dst_sel:DWORD dst_unused:UNUSED_PAD src0_sel:WORD_1 src1_sel:DWORD
	v_fma_f16 v44, v36, v45, -v44
	v_mul_f16_sdwa v45, v36, v45 dst_sel:DWORD dst_unused:UNUSED_PAD src0_sel:WORD_1 src1_sel:DWORD
	v_fma_f16 v12, v36, v12, v45
	v_mul_lo_u16_sdwa v36, v4, s4 dst_sel:DWORD dst_unused:UNUSED_PAD src0_sel:BYTE_0 src1_sel:DWORD
	v_mul_f16_sdwa v48, v37, v20 dst_sel:DWORD dst_unused:UNUSED_PAD src0_sel:WORD_1 src1_sel:DWORD
	v_lshrrev_b16_e32 v45, 9, v36
	v_fma_f16 v48, v37, v47, -v48
	v_mul_f16_sdwa v47, v37, v47 dst_sel:DWORD dst_unused:UNUSED_PAD src0_sel:WORD_1 src1_sel:DWORD
	v_mul_lo_u16_e32 v36, 3, v45
	v_fma_f16 v20, v37, v20, v47
	v_sub_u16_e32 v47, v4, v36
	v_mul_f16_sdwa v50, v38, v18 dst_sel:DWORD dst_unused:UNUSED_PAD src0_sel:WORD_1 src1_sel:DWORD
	v_mul_f16_sdwa v52, v39, v16 dst_sel:DWORD dst_unused:UNUSED_PAD src0_sel:WORD_1 src1_sel:DWORD
	v_mul_u32_u24_sdwa v36, v47, v40 dst_sel:DWORD dst_unused:UNUSED_PAD src0_sel:BYTE_0 src1_sel:DWORD
	v_fma_f16 v50, v38, v49, -v50
	v_mul_f16_sdwa v49, v38, v49 dst_sel:DWORD dst_unused:UNUSED_PAD src0_sel:WORD_1 src1_sel:DWORD
	v_fma_f16 v52, v39, v51, -v52
	v_mul_f16_sdwa v51, v39, v51 dst_sel:DWORD dst_unused:UNUSED_PAD src0_sel:WORD_1 src1_sel:DWORD
	v_lshlrev_b32_e32 v40, 2, v36
	v_fma_f16 v18, v38, v18, v49
	v_fma_f16 v16, v39, v16, v51
	global_load_dword v51, v40, s[8:9] offset:16
	global_load_dwordx4 v[36:39], v40, s[8:9]
	v_lshrrev_b32_e32 v49, 16, v19
	s_movk_i32 s4, 0x3aee
	s_waitcnt lgkmcnt(0)
	; wave barrier
	s_waitcnt vmcnt(0) lgkmcnt(0)
	v_mul_f16_sdwa v40, v36, v49 dst_sel:DWORD dst_unused:UNUSED_PAD src0_sel:WORD_1 src1_sel:DWORD
	v_mul_f16_sdwa v54, v37, v53 dst_sel:DWORD dst_unused:UNUSED_PAD src0_sel:WORD_1 src1_sel:DWORD
	v_fma_f16 v40, v36, v19, v40
	v_mul_f16_sdwa v19, v36, v19 dst_sel:DWORD dst_unused:UNUSED_PAD src0_sel:WORD_1 src1_sel:DWORD
	v_fma_f16 v54, v37, v17, v54
	v_mul_f16_sdwa v17, v37, v17 dst_sel:DWORD dst_unused:UNUSED_PAD src0_sel:WORD_1 src1_sel:DWORD
	v_fma_f16 v19, v36, v49, -v19
	v_fma_f16 v17, v37, v53, -v17
	v_lshrrev_b32_e32 v36, 16, v13
	v_mul_f16_sdwa v37, v13, v39 dst_sel:DWORD dst_unused:UNUSED_PAD src0_sel:DWORD src1_sel:WORD_1
	v_mul_f16_sdwa v56, v38, v55 dst_sel:DWORD dst_unused:UNUSED_PAD src0_sel:WORD_1 src1_sel:DWORD
	v_fma_f16 v37, v36, v39, -v37
	v_mul_f16_sdwa v36, v36, v39 dst_sel:DWORD dst_unused:UNUSED_PAD src0_sel:DWORD src1_sel:WORD_1
	v_fma_f16 v56, v38, v15, v56
	v_mul_f16_sdwa v15, v38, v15 dst_sel:DWORD dst_unused:UNUSED_PAD src0_sel:WORD_1 src1_sel:DWORD
	v_fma_f16 v36, v13, v39, v36
	v_lshrrev_b32_e32 v13, 16, v14
	v_fma_f16 v15, v38, v55, -v15
	v_mul_f16_sdwa v38, v46, v13 dst_sel:DWORD dst_unused:UNUSED_PAD src0_sel:WORD_1 src1_sel:DWORD
	v_fma_f16 v38, v46, v14, v38
	v_mul_f16_sdwa v14, v46, v14 dst_sel:DWORD dst_unused:UNUSED_PAD src0_sel:WORD_1 src1_sel:DWORD
	v_fma_f16 v13, v46, v13, -v14
	v_add_f16_e32 v14, v20, v16
	v_lshrrev_b32_e32 v39, 16, v11
	v_fma_f16 v14, v14, -0.5, v11
	v_add_f16_e32 v11, v11, v20
	v_add_f16_e32 v46, v39, v48
	v_sub_f16_e32 v49, v48, v52
	v_add_f16_e32 v48, v48, v52
	v_fma_f16 v39, v48, -0.5, v39
	v_add_f16_e32 v48, v11, v16
	v_add_f16_e32 v11, v44, v50
	v_sub_f16_e32 v16, v20, v16
	v_add_f16_e32 v20, v11, v13
	v_add_f16_e32 v11, v50, v13
	;; [unrolled: 1-line block ×3, first 2 shown]
	v_sub_f16_e32 v52, v50, v13
	v_fma_f16 v13, v11, -0.5, v44
	v_add_f16_e32 v11, v18, v38
	v_fma_f16 v44, v11, -0.5, v12
	v_add_f16_e32 v11, v12, v18
	v_sub_f16_e32 v18, v18, v38
	v_add_f16_e32 v12, v11, v38
	v_fma_f16 v38, v18, s4, v13
	v_fma_f16 v11, v52, s5, v44
	v_mul_f16_e32 v50, 0xbaee, v38
	v_mul_f16_e32 v38, 0.5, v38
	v_fma_f16 v50, v11, 0.5, v50
	v_fma_f16 v38, v11, s4, v38
	v_mov_b32_e32 v11, 2
	v_lshlrev_b32_sdwa v43, v11, v43 dst_sel:DWORD dst_unused:UNUSED_PAD src0_sel:DWORD src1_sel:BYTE_0
	v_add3_u32 v42, 0, v42, v43
	v_add_f16_e32 v43, v48, v12
	v_add_f16_e32 v53, v46, v20
	v_pack_b32_f16 v43, v43, v53
	v_fma_f16 v53, v49, s5, v14
	v_fma_f16 v55, v16, s4, v39
	;; [unrolled: 1-line block ×3, first 2 shown]
	v_add_f16_e32 v57, v53, v50
	v_add_f16_e32 v58, v55, v38
	v_fma_f16 v16, v16, s5, v39
	v_fma_f16 v39, v52, s4, v44
	v_mul_f16_e32 v18, 0xbaee, v13
	v_mul_f16_e32 v13, -0.5, v13
	v_pack_b32_f16 v57, v57, v58
	v_fma_f16 v14, v49, s4, v14
	v_fma_f16 v18, v39, -0.5, v18
	v_fma_f16 v13, v39, s4, v13
	ds_write2_b32 v42, v43, v57 offset1:3
	v_sub_f16_e32 v12, v48, v12
	v_sub_f16_e32 v20, v46, v20
	v_add_f16_e32 v39, v14, v18
	v_add_f16_e32 v43, v16, v13
	v_pack_b32_f16 v39, v39, v43
	v_pack_b32_f16 v12, v12, v20
	ds_write2_b32 v42, v39, v12 offset0:6 offset1:9
	v_sub_f16_e32 v12, v53, v50
	v_sub_f16_e32 v14, v14, v18
	;; [unrolled: 1-line block ×4, first 2 shown]
	v_pack_b32_f16 v12, v12, v18
	v_pack_b32_f16 v13, v14, v13
	ds_write2_b32 v42, v12, v13 offset0:12 offset1:15
	v_lshrrev_b32_e32 v12, 16, v29
	v_mul_f16_sdwa v13, v12, v51 dst_sel:DWORD dst_unused:UNUSED_PAD src0_sel:DWORD src1_sel:WORD_1
	v_fma_f16 v16, v29, v51, v13
	v_mul_f16_sdwa v13, v29, v51 dst_sel:DWORD dst_unused:UNUSED_PAD src0_sel:DWORD src1_sel:WORD_1
	v_fma_f16 v12, v12, v51, -v13
	v_mul_f16_sdwa v13, v5, v41 dst_sel:DWORD dst_unused:UNUSED_PAD src0_sel:DWORD src1_sel:WORD_1
	v_fma_f16 v13, v7, v41, v13
	v_mul_f16_sdwa v7, v7, v41 dst_sel:DWORD dst_unused:UNUSED_PAD src0_sel:DWORD src1_sel:WORD_1
	v_fma_f16 v14, v5, v41, -v7
	v_add_f16_e32 v5, v54, v36
	v_fma_f16 v5, v5, -0.5, v28
	v_sub_f16_e32 v7, v17, v37
	v_fma_f16 v18, v7, s5, v5
	v_fma_f16 v5, v7, s4, v5
	v_lshrrev_b32_e32 v7, 16, v28
	v_add_f16_e32 v20, v7, v17
	v_add_f16_e32 v17, v17, v37
	v_fma_f16 v7, v17, -0.5, v7
	v_add_f16_e32 v17, v28, v54
	v_sub_f16_e32 v28, v54, v36
	v_fma_f16 v29, v28, s4, v7
	v_fma_f16 v7, v28, s5, v7
	v_add_f16_e32 v28, v56, v16
	v_add_f16_e32 v17, v17, v36
	v_fma_f16 v28, v28, -0.5, v40
	v_sub_f16_e32 v36, v15, v12
	v_add_f16_e32 v20, v20, v37
	v_fma_f16 v37, v36, s5, v28
	v_fma_f16 v28, v36, s4, v28
	v_add_f16_e32 v36, v19, v15
	v_add_f16_e32 v36, v36, v12
	;; [unrolled: 1-line block ×4, first 2 shown]
	v_fma_f16 v12, v12, -0.5, v19
	v_add_f16_e32 v15, v15, v16
	v_sub_f16_e32 v16, v56, v16
	v_fma_f16 v19, v16, s4, v12
	v_fma_f16 v12, v16, s5, v12
	v_mul_f16_e32 v16, 0xbaee, v19
	v_mul_f16_e32 v19, 0.5, v19
	v_fma_f16 v16, v37, 0.5, v16
	v_fma_f16 v19, v37, s4, v19
	v_mul_f16_e32 v37, 0xbaee, v12
	v_mul_f16_e32 v12, -0.5, v12
	v_fma_f16 v37, v28, -0.5, v37
	v_fma_f16 v12, v28, s4, v12
	v_add_f16_e32 v28, v17, v15
	v_sub_f16_e32 v17, v17, v15
	v_add_f16_e32 v15, v18, v16
	v_sub_f16_e32 v38, v18, v16
	;; [unrolled: 2-line block ×6, first 2 shown]
	v_mul_u32_u24_e32 v12, 0x48, v45
	v_lshlrev_b32_sdwa v37, v11, v47 dst_sel:DWORD dst_unused:UNUSED_PAD src0_sel:DWORD src1_sel:BYTE_0
	v_add3_u32 v37, 0, v12, v37
	v_pack_b32_f16 v12, v28, v16
	v_pack_b32_f16 v15, v15, v36
	ds_write2_b32 v37, v12, v15 offset1:3
	v_add_f16_e32 v12, v22, v32
	v_fma_f16 v12, v12, -0.5, v27
	v_sub_f16_e32 v16, v34, v35
	v_fma_f16 v15, v16, s5, v12
	v_fma_f16 v16, v16, s4, v12
	v_pack_b32_f16 v12, v18, v19
	v_add_f16_e32 v18, v34, v35
	v_pack_b32_f16 v17, v17, v20
	v_lshrrev_b32_e32 v19, 16, v27
	v_fma_f16 v18, v18, -0.5, v19
	ds_write2_b32 v37, v12, v17 offset0:6 offset1:9
	v_sub_f16_e32 v12, v22, v32
	v_fma_f16 v17, v12, s4, v18
	v_fma_f16 v18, v12, s5, v18
	v_add_f16_e32 v12, v23, v13
	v_fma_f16 v12, v12, -0.5, v31
	v_sub_f16_e32 v20, v33, v14
	v_fma_f16 v36, v20, s5, v12
	v_fma_f16 v39, v20, s4, v12
	v_pack_b32_f16 v20, v38, v29
	v_sub_u32_e32 v12, 0, v1
	v_pack_b32_f16 v1, v5, v7
	v_add_f16_e32 v5, v33, v14
	v_fma_f16 v5, v5, -0.5, v21
	ds_write2_b32 v37, v20, v1 offset0:12 offset1:15
	v_sub_f16_e32 v1, v23, v13
	v_fma_f16 v7, v1, s4, v5
	v_fma_f16 v1, v1, s5, v5
	v_mul_f16_e32 v5, 0xbaee, v7
	v_fma_f16 v20, v36, 0.5, v5
	v_mul_f16_e32 v5, 0xbaee, v1
	v_fma_f16 v28, v39, -0.5, v5
	v_mul_f16_e32 v5, 0.5, v7
	v_mul_f16_e32 v1, -0.5, v1
	v_fma_f16 v36, v36, s4, v5
	v_fma_f16 v37, v39, s4, v1
	v_sub_f16_e32 v1, v15, v20
	v_sub_f16_e32 v5, v16, v28
	;; [unrolled: 1-line block ×4, first 2 shown]
	s_and_saveexec_b64 s[4:5], s[2:3]
	s_cbranch_execz .LBB0_19
; %bb.18:
	v_add_f16_e32 v19, v19, v34
	v_add_f16_e32 v21, v21, v33
	;; [unrolled: 1-line block ×8, first 2 shown]
	v_sub_f16_e32 v21, v19, v14
	v_sub_f16_e32 v23, v22, v13
	v_add_f16_e32 v17, v17, v36
	v_add_f16_e32 v14, v19, v14
	;; [unrolled: 1-line block ×4, first 2 shown]
	v_mul_u32_u24_e32 v19, 0x48, v24
	v_lshlrev_b32_sdwa v11, v11, v30 dst_sel:DWORD dst_unused:UNUSED_PAD src0_sel:DWORD src1_sel:BYTE_0
	v_add_f16_e32 v18, v18, v37
	v_add_f16_e32 v16, v16, v28
	v_add3_u32 v11, 0, v19, v11
	v_pack_b32_f16 v13, v13, v14
	v_pack_b32_f16 v14, v15, v17
	ds_write2_b32 v11, v13, v14 offset1:3
	v_pack_b32_f16 v13, v16, v18
	v_pack_b32_f16 v14, v23, v21
	s_mov_b32 s2, 0x5040100
	ds_write2_b32 v11, v13, v14 offset0:6 offset1:9
	v_perm_b32 v13, v7, v1, s2
	v_perm_b32 v14, v29, v5, s2
	ds_write2_b32 v11, v13, v14 offset0:12 offset1:15
.LBB0_19:
	s_or_b64 exec, exec, s[4:5]
	v_mov_b32_e32 v11, 57
	v_mul_lo_u16_sdwa v11, v0, v11 dst_sel:DWORD dst_unused:UNUSED_PAD src0_sel:BYTE_0 src1_sel:DWORD
	v_lshrrev_b16_e32 v43, 10, v11
	v_mul_lo_u16_e32 v11, 18, v43
	v_sub_u16_e32 v44, v0, v11
	v_mov_b32_e32 v11, 15
	v_mul_u32_u24_sdwa v11, v44, v11 dst_sel:DWORD dst_unused:UNUSED_PAD src0_sel:BYTE_0 src1_sel:DWORD
	v_lshlrev_b32_e32 v11, 2, v11
	s_waitcnt lgkmcnt(0)
	; wave barrier
	s_waitcnt lgkmcnt(0)
	global_load_dwordx4 v[13:16], v11, s[8:9] offset:60
	global_load_dwordx4 v[17:20], v11, s[8:9] offset:76
	;; [unrolled: 1-line block ×3, first 2 shown]
	global_load_dwordx3 v[34:36], v11, s[8:9] offset:108
	v_lshl_add_u32 v27, v10, 2, 0
	ds_read_b32 v45, v25
	v_add_u32_e32 v28, v26, v12
	v_lshl_add_u32 v26, v9, 2, 0
	v_lshl_add_u32 v24, v6, 2, 0
	;; [unrolled: 1-line block ×3, first 2 shown]
	v_add_u32_e32 v46, 0x400, v25
	v_add_u32_e32 v47, 0x800, v25
	v_add_u32_e32 v48, 0xa00, v25
	ds_read_b32 v49, v27
	ds_read_b32 v50, v26
	ds_read_b32 v51, v24
	ds_read_b32 v52, v28
	ds_read_b32 v53, v23
	ds_read2_b32 v[11:12], v46 offset0:68 offset1:122
	ds_read2_b32 v[21:22], v46 offset0:176 offset1:230
	;; [unrolled: 1-line block ×5, first 2 shown]
	s_waitcnt lgkmcnt(6)
	v_lshrrev_b32_e32 v57, 16, v52
	v_lshrrev_b32_e32 v58, 16, v49
	v_lshrrev_b32_e32 v59, 16, v50
	v_lshrrev_b32_e32 v60, 16, v51
	s_waitcnt lgkmcnt(4)
	v_lshrrev_b32_e32 v55, 16, v11
	v_lshrrev_b32_e32 v56, 16, v12
	;; [unrolled: 1-line block ×3, first 2 shown]
	s_mov_b32 s2, 0xb9a8
	s_movk_i32 s3, 0x39a8
	s_mov_b32 s4, 0xbb64
	s_movk_i32 s5, 0x361f
	s_mov_b32 s6, 0xb61f
	s_movk_i32 s7, 0x3b64
	s_waitcnt lgkmcnt(0)
	; wave barrier
	s_waitcnt vmcnt(3) lgkmcnt(0)
	v_mul_f16_sdwa v61, v13, v57 dst_sel:DWORD dst_unused:UNUSED_PAD src0_sel:WORD_1 src1_sel:DWORD
	v_fma_f16 v61, v13, v52, v61
	v_mul_f16_sdwa v52, v13, v52 dst_sel:DWORD dst_unused:UNUSED_PAD src0_sel:WORD_1 src1_sel:DWORD
	v_fma_f16 v13, v13, v57, -v52
	v_mul_f16_sdwa v52, v14, v58 dst_sel:DWORD dst_unused:UNUSED_PAD src0_sel:WORD_1 src1_sel:DWORD
	v_fma_f16 v52, v14, v49, v52
	v_mul_f16_sdwa v49, v14, v49 dst_sel:DWORD dst_unused:UNUSED_PAD src0_sel:WORD_1 src1_sel:DWORD
	v_fma_f16 v14, v14, v58, -v49
	;; [unrolled: 4-line block ×4, first 2 shown]
	s_waitcnt vmcnt(2)
	v_mul_f16_sdwa v58, v55, v18 dst_sel:DWORD dst_unused:UNUSED_PAD src0_sel:DWORD src1_sel:WORD_1
	v_mul_f16_sdwa v60, v56, v19 dst_sel:DWORD dst_unused:UNUSED_PAD src0_sel:DWORD src1_sel:WORD_1
	v_lshrrev_b32_e32 v57, 16, v22
	v_mul_f16_sdwa v59, v11, v18 dst_sel:DWORD dst_unused:UNUSED_PAD src0_sel:DWORD src1_sel:WORD_1
	v_fma_f16 v11, v11, v18, v58
	v_fma_f16 v58, v12, v19, v60
	v_mul_f16_sdwa v12, v12, v19 dst_sel:DWORD dst_unused:UNUSED_PAD src0_sel:DWORD src1_sel:WORD_1
	v_mul_f16_sdwa v60, v54, v17 dst_sel:DWORD dst_unused:UNUSED_PAD src0_sel:DWORD src1_sel:WORD_1
	v_fma_f16 v12, v56, v19, -v12
	s_waitcnt vmcnt(1)
	v_mul_f16_sdwa v56, v57, v30 dst_sel:DWORD dst_unused:UNUSED_PAD src0_sel:DWORD src1_sel:WORD_1
	v_fma_f16 v60, v53, v17, v60
	v_mul_f16_sdwa v53, v53, v17 dst_sel:DWORD dst_unused:UNUSED_PAD src0_sel:DWORD src1_sel:WORD_1
	v_fma_f16 v56, v22, v30, v56
	v_mul_f16_sdwa v22, v22, v30 dst_sel:DWORD dst_unused:UNUSED_PAD src0_sel:DWORD src1_sel:WORD_1
	v_fma_f16 v17, v54, v17, -v53
	v_lshrrev_b32_e32 v53, 16, v37
	v_lshrrev_b32_e32 v54, 16, v38
	v_fma_f16 v22, v57, v30, -v22
	v_mul_f16_sdwa v30, v37, v31 dst_sel:DWORD dst_unused:UNUSED_PAD src0_sel:DWORD src1_sel:WORD_1
	v_lshrrev_b32_e32 v51, 16, v21
	v_fma_f16 v18, v55, v18, -v59
	v_mul_f16_sdwa v19, v21, v20 dst_sel:DWORD dst_unused:UNUSED_PAD src0_sel:DWORD src1_sel:WORD_1
	v_mul_f16_sdwa v59, v53, v31 dst_sel:DWORD dst_unused:UNUSED_PAD src0_sel:DWORD src1_sel:WORD_1
	v_fma_f16 v30, v53, v31, -v30
	v_mul_f16_sdwa v53, v54, v32 dst_sel:DWORD dst_unused:UNUSED_PAD src0_sel:DWORD src1_sel:WORD_1
	v_fma_f16 v19, v51, v20, -v19
	v_mul_f16_sdwa v51, v51, v20 dst_sel:DWORD dst_unused:UNUSED_PAD src0_sel:DWORD src1_sel:WORD_1
	v_fma_f16 v31, v37, v31, v59
	v_fma_f16 v37, v38, v32, v53
	v_mul_f16_sdwa v38, v38, v32 dst_sel:DWORD dst_unused:UNUSED_PAD src0_sel:DWORD src1_sel:WORD_1
	v_fma_f16 v20, v21, v20, v51
	v_lshrrev_b32_e32 v21, 16, v39
	v_fma_f16 v32, v54, v32, -v38
	v_mul_f16_sdwa v38, v39, v33 dst_sel:DWORD dst_unused:UNUSED_PAD src0_sel:DWORD src1_sel:WORD_1
	v_lshrrev_b32_e32 v51, 16, v40
	v_fma_f16 v38, v21, v33, -v38
	v_mul_f16_sdwa v21, v21, v33 dst_sel:DWORD dst_unused:UNUSED_PAD src0_sel:DWORD src1_sel:WORD_1
	v_lshrrev_b32_e32 v55, 16, v41
	v_fma_f16 v21, v39, v33, v21
	s_waitcnt vmcnt(0)
	v_mul_f16_sdwa v33, v51, v34 dst_sel:DWORD dst_unused:UNUSED_PAD src0_sel:DWORD src1_sel:WORD_1
	v_mul_f16_sdwa v39, v40, v34 dst_sel:DWORD dst_unused:UNUSED_PAD src0_sel:DWORD src1_sel:WORD_1
	v_lshrrev_b32_e32 v53, 16, v42
	v_fma_f16 v33, v40, v34, v33
	v_fma_f16 v34, v51, v34, -v39
	v_mul_f16_sdwa v39, v55, v35 dst_sel:DWORD dst_unused:UNUSED_PAD src0_sel:DWORD src1_sel:WORD_1
	v_mul_f16_sdwa v40, v41, v35 dst_sel:DWORD dst_unused:UNUSED_PAD src0_sel:DWORD src1_sel:WORD_1
	v_fma_f16 v39, v41, v35, v39
	v_fma_f16 v35, v55, v35, -v40
	v_mul_f16_sdwa v40, v53, v36 dst_sel:DWORD dst_unused:UNUSED_PAD src0_sel:DWORD src1_sel:WORD_1
	v_mul_f16_sdwa v41, v42, v36 dst_sel:DWORD dst_unused:UNUSED_PAD src0_sel:DWORD src1_sel:WORD_1
	v_fma_f16 v40, v42, v36, v40
	v_fma_f16 v36, v53, v36, -v41
	v_lshrrev_b32_e32 v41, 16, v45
	v_sub_f16_e32 v20, v45, v20
	v_sub_f16_e32 v38, v16, v38
	;; [unrolled: 1-line block ×6, first 2 shown]
	v_fma_f16 v16, v16, 2.0, -v38
	v_sub_f16_e32 v30, v14, v30
	v_sub_f16_e32 v39, v11, v39
	v_fma_f16 v18, v18, 2.0, -v35
	v_add_f16_e32 v38, v20, v38
	v_add_f16_e32 v35, v31, v35
	v_fma_f16 v42, v45, 2.0, -v20
	v_fma_f16 v45, v50, 2.0, -v21
	;; [unrolled: 1-line block ×4, first 2 shown]
	v_sub_f16_e32 v51, v61, v56
	v_sub_f16_e32 v34, v17, v34
	;; [unrolled: 1-line block ×5, first 2 shown]
	v_fma_f16 v20, v20, 2.0, -v38
	v_sub_f16_e32 v39, v30, v39
	v_fma_f16 v31, v31, 2.0, -v35
	v_fma_f16 v41, v41, 2.0, -v19
	;; [unrolled: 1-line block ×3, first 2 shown]
	v_sub_f16_e32 v22, v13, v22
	v_sub_f16_e32 v33, v60, v33
	v_fma_f16 v17, v17, 2.0, -v34
	v_sub_f16_e32 v32, v15, v32
	v_sub_f16_e32 v40, v58, v40
	v_fma_f16 v12, v12, 2.0, -v36
	v_fma_f16 v19, v19, 2.0, -v21
	;; [unrolled: 1-line block ×3, first 2 shown]
	v_add_f16_e32 v34, v51, v34
	v_add_f16_e32 v36, v37, v36
	v_fma_f16 v55, v31, s2, v20
	v_fma_f16 v52, v61, 2.0, -v51
	v_fma_f16 v53, v60, 2.0, -v33
	;; [unrolled: 1-line block ×4, first 2 shown]
	v_sub_f16_e32 v33, v22, v33
	v_fma_f16 v51, v51, 2.0, -v34
	v_sub_f16_e32 v40, v32, v40
	v_fma_f16 v37, v37, 2.0, -v36
	v_fma_f16 v56, v30, s2, v19
	v_fma_f16 v30, v30, s3, v55
	;; [unrolled: 1-line block ×3, first 2 shown]
	v_fma_f16 v13, v13, 2.0, -v22
	v_fma_f16 v15, v15, 2.0, -v32
	;; [unrolled: 1-line block ×4, first 2 shown]
	v_fma_f16 v31, v31, s2, v56
	v_fma_f16 v56, v39, s3, v21
	;; [unrolled: 1-line block ×4, first 2 shown]
	v_sub_f16_e32 v45, v42, v45
	v_sub_f16_e32 v18, v14, v18
	;; [unrolled: 1-line block ×4, first 2 shown]
	v_fma_f16 v35, v35, s2, v56
	v_fma_f16 v56, v32, s2, v22
	v_fma_f16 v32, v32, s3, v55
	v_sub_f16_e32 v16, v41, v16
	v_sub_f16_e32 v11, v50, v11
	v_fma_f16 v14, v14, 2.0, -v18
	v_sub_f16_e32 v17, v13, v17
	v_sub_f16_e32 v54, v49, v54
	v_fma_f16 v15, v15, 2.0, -v12
	v_fma_f16 v20, v20, 2.0, -v30
	v_add_f16_e32 v18, v45, v18
	v_fma_f16 v37, v37, s2, v56
	v_fma_f16 v51, v51, 2.0, -v32
	v_add_f16_e32 v12, v53, v12
	v_fma_f16 v55, v36, s3, v34
	v_fma_f16 v42, v42, 2.0, -v45
	v_fma_f16 v50, v50, 2.0, -v11
	;; [unrolled: 1-line block ×5, first 2 shown]
	v_sub_f16_e32 v11, v16, v11
	v_fma_f16 v45, v45, 2.0, -v18
	v_fma_f16 v22, v22, 2.0, -v37
	v_sub_f16_e32 v54, v17, v54
	v_fma_f16 v53, v53, 2.0, -v12
	v_fma_f16 v56, v40, s3, v33
	v_fma_f16 v40, v40, s3, v55
	;; [unrolled: 1-line block ×3, first 2 shown]
	v_fma_f16 v41, v41, 2.0, -v16
	v_fma_f16 v13, v13, 2.0, -v17
	;; [unrolled: 1-line block ×5, first 2 shown]
	v_fma_f16 v36, v36, s2, v56
	v_fma_f16 v34, v34, 2.0, -v40
	v_fma_f16 v56, v22, s4, v19
	v_fma_f16 v22, v22, s5, v55
	;; [unrolled: 1-line block ×3, first 2 shown]
	v_fma_f16 v21, v21, 2.0, -v35
	v_fma_f16 v33, v33, 2.0, -v36
	v_fma_f16 v51, v51, s6, v56
	v_fma_f16 v56, v17, s2, v16
	;; [unrolled: 1-line block ×12, first 2 shown]
	v_fma_f16 v55, v30, 2.0, -v37
	v_fma_f16 v30, v12, s3, v18
	v_sub_f16_e32 v50, v42, v50
	v_sub_f16_e32 v14, v41, v14
	v_sub_f16_e32 v49, v52, v49
	v_sub_f16_e32 v15, v13, v15
	v_fma_f16 v56, v31, 2.0, -v32
	v_fma_f16 v31, v54, s3, v11
	v_fma_f16 v54, v54, s3, v30
	;; [unrolled: 1-line block ×3, first 2 shown]
	v_fma_f16 v42, v42, 2.0, -v50
	v_fma_f16 v41, v41, 2.0, -v14
	v_fma_f16 v52, v52, 2.0, -v49
	v_fma_f16 v13, v13, 2.0, -v15
	v_fma_f16 v30, v36, s5, v30
	v_sub_f16_e32 v52, v42, v52
	v_sub_f16_e32 v13, v41, v13
	v_fma_f16 v12, v12, s2, v31
	v_fma_f16 v31, v36, s7, v35
	v_fma_f16 v36, v39, 2.0, -v30
	v_mul_u32_u24_e32 v39, 0x120, v43
	v_fma_f16 v42, v42, 2.0, -v52
	v_fma_f16 v41, v41, 2.0, -v13
	;; [unrolled: 1-line block ×4, first 2 shown]
	v_or_b32_sdwa v39, v39, v44 dst_sel:DWORD dst_unused:UNUSED_PAD src0_sel:DWORD src1_sel:BYTE_0
	v_fma_f16 v45, v45, 2.0, -v17
	v_fma_f16 v16, v16, 2.0, -v53
	;; [unrolled: 1-line block ×4, first 2 shown]
	v_add_f16_e32 v15, v50, v15
	v_sub_f16_e32 v49, v14, v49
	v_fma_f16 v31, v40, s6, v31
	v_lshl_add_u32 v39, v39, 2, 0
	v_pack_b32_f16 v40, v42, v41
	v_pack_b32_f16 v19, v20, v19
	v_fma_f16 v50, v50, 2.0, -v15
	v_fma_f16 v14, v14, 2.0, -v49
	ds_write2_b32 v39, v40, v19 offset1:18
	v_pack_b32_f16 v16, v45, v16
	v_pack_b32_f16 v19, v38, v21
	v_fma_f16 v18, v18, 2.0, -v54
	v_fma_f16 v11, v11, 2.0, -v12
	;; [unrolled: 1-line block ×3, first 2 shown]
	ds_write2_b32 v39, v16, v19 offset0:36 offset1:54
	v_pack_b32_f16 v14, v50, v14
	v_pack_b32_f16 v16, v55, v56
	ds_write2_b32 v39, v14, v16 offset0:72 offset1:90
	v_pack_b32_f16 v11, v18, v11
	v_pack_b32_f16 v14, v36, v35
	;; [unrolled: 3-line block ×6, first 2 shown]
	v_add_u32_e32 v13, 0x200, v39
	ds_write2_b32 v13, v11, v12 offset0:124 offset1:142
	v_add_u32_e32 v11, 0x600, v25
	s_waitcnt lgkmcnt(0)
	; wave barrier
	s_waitcnt lgkmcnt(0)
	ds_read2_b32 v[21:22], v46 offset0:32 offset1:86
	ds_read2_b32 v[13:14], v11 offset0:120 offset1:192
	;; [unrolled: 1-line block ×4, first 2 shown]
	ds_read_b32 v34, v27
	ds_read_b32 v33, v26
	ds_read2_b32 v[15:16], v48 offset0:98 offset1:152
	ds_read_b32 v36, v25
	ds_read_b32 v35, v28
	;; [unrolled: 1-line block ×3, first 2 shown]
	s_and_saveexec_b64 s[2:3], s[0:1]
	s_cbranch_execz .LBB0_21
; %bb.20:
	ds_read_b32 v30, v23
	ds_read_b32 v1, v25 offset:2232
	ds_read_b32 v5, v25 offset:3384
	s_waitcnt lgkmcnt(2)
	v_lshrrev_b32_e32 v31, 16, v30
	s_waitcnt lgkmcnt(1)
	v_lshrrev_b32_e32 v7, 16, v1
	;; [unrolled: 2-line block ×3, first 2 shown]
.LBB0_21:
	s_or_b64 exec, exec, s[2:3]
	v_lshlrev_b32_e32 v11, 1, v0
	v_mov_b32_e32 v12, 0
	v_lshlrev_b64 v[37:38], 2, v[11:12]
	v_mov_b32_e32 v54, s9
	v_add_co_u32_e64 v37, s[2:3], s8, v37
	v_addc_co_u32_e64 v38, s[2:3], v54, v38, s[2:3]
	global_load_dwordx2 v[37:38], v[37:38], off offset:1140
	s_waitcnt lgkmcnt(9)
	v_lshrrev_b32_e32 v53, 16, v21
	s_waitcnt lgkmcnt(8)
	v_lshrrev_b32_e32 v52, 16, v14
	v_lshrrev_b32_e32 v51, 16, v22
	s_waitcnt lgkmcnt(7)
	v_lshrrev_b32_e32 v50, 16, v19
	s_waitcnt lgkmcnt(6)
	v_lshrrev_b32_e32 v49, 16, v17
	v_lshrrev_b32_e32 v48, 16, v20
	;; [unrolled: 1-line block ×3, first 2 shown]
	s_waitcnt lgkmcnt(3)
	v_lshrrev_b32_e32 v43, 16, v15
	v_lshrrev_b32_e32 v45, 16, v13
	;; [unrolled: 1-line block ×3, first 2 shown]
	s_waitcnt lgkmcnt(2)
	v_lshrrev_b32_e32 v39, 16, v36
	s_mov_b32 s4, 0xbaee
	s_movk_i32 s5, 0x3aee
	s_waitcnt lgkmcnt(1)
	v_lshrrev_b32_e32 v40, 16, v35
	v_lshrrev_b32_e32 v41, 16, v34
	;; [unrolled: 1-line block ×3, first 2 shown]
	s_waitcnt lgkmcnt(0)
	v_lshrrev_b32_e32 v44, 16, v32
	s_waitcnt vmcnt(0)
	v_mul_f16_sdwa v11, v37, v53 dst_sel:DWORD dst_unused:UNUSED_PAD src0_sel:WORD_1 src1_sel:DWORD
	v_fma_f16 v55, v37, v21, v11
	v_mul_f16_sdwa v11, v37, v21 dst_sel:DWORD dst_unused:UNUSED_PAD src0_sel:WORD_1 src1_sel:DWORD
	v_fma_f16 v53, v37, v53, -v11
	v_mul_f16_sdwa v11, v38, v52 dst_sel:DWORD dst_unused:UNUSED_PAD src0_sel:WORD_1 src1_sel:DWORD
	v_fma_f16 v56, v38, v14, v11
	v_mul_f16_sdwa v11, v38, v14 dst_sel:DWORD dst_unused:UNUSED_PAD src0_sel:WORD_1 src1_sel:DWORD
	v_fma_f16 v52, v38, v52, -v11
	v_lshlrev_b32_e32 v11, 1, v4
	v_lshlrev_b64 v[37:38], 2, v[11:12]
	v_add_co_u32_e64 v37, s[2:3], s8, v37
	v_addc_co_u32_e64 v38, s[2:3], v54, v38, s[2:3]
	global_load_dwordx2 v[37:38], v[37:38], off offset:1140
	s_waitcnt vmcnt(0)
	v_mul_f16_sdwa v11, v37, v51 dst_sel:DWORD dst_unused:UNUSED_PAD src0_sel:WORD_1 src1_sel:DWORD
	v_fma_f16 v57, v37, v22, v11
	v_mul_f16_sdwa v11, v37, v22 dst_sel:DWORD dst_unused:UNUSED_PAD src0_sel:WORD_1 src1_sel:DWORD
	v_fma_f16 v37, v37, v51, -v11
	v_mul_f16_sdwa v11, v38, v50 dst_sel:DWORD dst_unused:UNUSED_PAD src0_sel:WORD_1 src1_sel:DWORD
	v_fma_f16 v51, v38, v19, v11
	v_mul_f16_sdwa v11, v38, v19 dst_sel:DWORD dst_unused:UNUSED_PAD src0_sel:WORD_1 src1_sel:DWORD
	v_fma_f16 v38, v38, v50, -v11
	v_lshlrev_b32_e32 v11, 1, v10
	v_lshlrev_b64 v[21:22], 2, v[11:12]
	v_add_co_u32_e64 v21, s[2:3], s8, v21
	v_addc_co_u32_e64 v22, s[2:3], v54, v22, s[2:3]
	global_load_dwordx2 v[21:22], v[21:22], off offset:1140
	s_waitcnt vmcnt(0)
	v_mul_f16_sdwa v11, v21, v49 dst_sel:DWORD dst_unused:UNUSED_PAD src0_sel:WORD_1 src1_sel:DWORD
	v_fma_f16 v50, v21, v17, v11
	v_mul_f16_sdwa v11, v21, v17 dst_sel:DWORD dst_unused:UNUSED_PAD src0_sel:WORD_1 src1_sel:DWORD
	v_fma_f16 v17, v21, v49, -v11
	v_mul_f16_sdwa v11, v22, v48 dst_sel:DWORD dst_unused:UNUSED_PAD src0_sel:WORD_1 src1_sel:DWORD
	v_fma_f16 v21, v22, v20, v11
	v_mul_f16_sdwa v11, v22, v20 dst_sel:DWORD dst_unused:UNUSED_PAD src0_sel:WORD_1 src1_sel:DWORD
	v_fma_f16 v22, v22, v48, -v11
	v_lshlrev_b32_e32 v11, 1, v9
	v_lshlrev_b64 v[19:20], 2, v[11:12]
	v_add_f16_e32 v49, v57, v51
	v_add_co_u32_e64 v19, s[2:3], s8, v19
	v_addc_co_u32_e64 v20, s[2:3], v54, v20, s[2:3]
	global_load_dwordx2 v[19:20], v[19:20], off offset:1140
	s_waitcnt vmcnt(0)
	v_mul_f16_sdwa v11, v19, v47 dst_sel:DWORD dst_unused:UNUSED_PAD src0_sel:WORD_1 src1_sel:DWORD
	v_fma_f16 v48, v19, v18, v11
	v_mul_f16_sdwa v11, v19, v18 dst_sel:DWORD dst_unused:UNUSED_PAD src0_sel:WORD_1 src1_sel:DWORD
	v_fma_f16 v18, v19, v47, -v11
	v_mul_f16_sdwa v11, v43, v20 dst_sel:DWORD dst_unused:UNUSED_PAD src0_sel:DWORD src1_sel:WORD_1
	v_fma_f16 v19, v15, v20, v11
	v_mul_f16_sdwa v11, v15, v20 dst_sel:DWORD dst_unused:UNUSED_PAD src0_sel:DWORD src1_sel:WORD_1
	v_fma_f16 v20, v43, v20, -v11
	v_lshlrev_b32_e32 v11, 1, v6
	v_lshlrev_b64 v[14:15], 2, v[11:12]
	v_add_f16_e32 v43, v55, v56
	v_add_co_u32_e64 v14, s[2:3], s8, v14
	v_addc_co_u32_e64 v15, s[2:3], v54, v15, s[2:3]
	global_load_dwordx2 v[14:15], v[14:15], off offset:1140
	s_waitcnt lgkmcnt(0)
	; wave barrier
	s_waitcnt vmcnt(0)
	v_mul_f16_sdwa v11, v45, v14 dst_sel:DWORD dst_unused:UNUSED_PAD src0_sel:DWORD src1_sel:WORD_1
	v_fma_f16 v11, v13, v14, v11
	v_mul_f16_sdwa v13, v13, v14 dst_sel:DWORD dst_unused:UNUSED_PAD src0_sel:DWORD src1_sel:WORD_1
	v_fma_f16 v13, v45, v14, -v13
	v_mul_f16_sdwa v14, v46, v15 dst_sel:DWORD dst_unused:UNUSED_PAD src0_sel:DWORD src1_sel:WORD_1
	v_fma_f16 v14, v16, v15, v14
	v_mul_f16_sdwa v16, v16, v15 dst_sel:DWORD dst_unused:UNUSED_PAD src0_sel:DWORD src1_sel:WORD_1
	v_fma_f16 v15, v46, v15, -v16
	v_add_f16_e32 v16, v36, v55
	v_fma_f16 v36, v43, -0.5, v36
	v_sub_f16_e32 v43, v53, v52
	v_add_f16_e32 v46, v53, v52
	v_fma_f16 v45, v43, s4, v36
	v_fma_f16 v36, v43, s5, v36
	v_add_f16_e32 v43, v39, v53
	v_fma_f16 v39, v46, -0.5, v39
	v_sub_f16_e32 v46, v55, v56
	v_fma_f16 v47, v46, s5, v39
	v_fma_f16 v39, v46, s4, v39
	v_add_f16_e32 v46, v35, v57
	v_fma_f16 v35, v49, -0.5, v35
	v_sub_f16_e32 v49, v37, v38
	v_add_f16_e32 v43, v43, v52
	v_fma_f16 v52, v49, s4, v35
	v_fma_f16 v35, v49, s5, v35
	v_add_f16_e32 v49, v40, v37
	v_add_f16_e32 v37, v37, v38
	;; [unrolled: 1-line block ×4, first 2 shown]
	v_fma_f16 v37, v37, -0.5, v40
	v_sub_f16_e32 v38, v57, v51
	v_add_f16_e32 v51, v50, v21
	v_fma_f16 v40, v38, s5, v37
	v_fma_f16 v37, v38, s4, v37
	v_add_f16_e32 v38, v34, v50
	v_fma_f16 v34, v51, -0.5, v34
	v_sub_f16_e32 v51, v17, v22
	v_fma_f16 v53, v51, s4, v34
	v_fma_f16 v34, v51, s5, v34
	v_add_f16_e32 v51, v41, v17
	v_add_f16_e32 v17, v17, v22
	v_add_f16_e32 v38, v38, v21
	v_fma_f16 v17, v17, -0.5, v41
	v_sub_f16_e32 v21, v50, v21
	v_add_f16_e32 v41, v48, v19
	v_add_f16_e32 v51, v51, v22
	v_fma_f16 v22, v21, s5, v17
	v_fma_f16 v17, v21, s4, v17
	v_add_f16_e32 v21, v33, v48
	v_fma_f16 v33, v41, -0.5, v33
	v_sub_f16_e32 v41, v18, v20
	v_fma_f16 v50, v41, s4, v33
	v_fma_f16 v33, v41, s5, v33
	v_add_f16_e32 v41, v42, v18
	v_add_f16_e32 v18, v18, v20
	v_add_f16_e32 v21, v21, v19
	v_fma_f16 v18, v18, -0.5, v42
	v_sub_f16_e32 v19, v48, v19
	v_add_f16_e32 v42, v11, v14
	v_add_f16_e32 v41, v41, v20
	v_fma_f16 v20, v19, s5, v18
	v_fma_f16 v18, v19, s4, v18
	v_add_f16_e32 v19, v32, v11
	v_fma_f16 v32, v42, -0.5, v32
	v_sub_f16_e32 v42, v13, v15
	v_fma_f16 v48, v42, s4, v32
	v_fma_f16 v32, v42, s5, v32
	v_add_f16_e32 v42, v44, v13
	v_add_f16_e32 v13, v13, v15
	v_add_f16_e32 v16, v16, v56
	v_fma_f16 v13, v13, -0.5, v44
	v_sub_f16_e32 v11, v11, v14
	v_add_f16_e32 v19, v19, v14
	v_fma_f16 v14, v11, s5, v13
	v_fma_f16 v11, v11, s4, v13
	v_pack_b32_f16 v13, v16, v43
	ds_write_b32 v25, v13
	v_pack_b32_f16 v13, v45, v47
	ds_write_b32 v25, v13 offset:1152
	v_pack_b32_f16 v13, v36, v39
	ds_write_b32 v25, v13 offset:2304
	v_pack_b32_f16 v13, v46, v49
	ds_write_b32 v28, v13
	v_pack_b32_f16 v13, v52, v40
	ds_write_b32 v28, v13 offset:1152
	v_pack_b32_f16 v13, v35, v37
	ds_write_b32 v28, v13 offset:2304
	v_pack_b32_f16 v13, v38, v51
	ds_write_b32 v27, v13
	v_pack_b32_f16 v13, v53, v22
	ds_write_b32 v27, v13 offset:1152
	v_pack_b32_f16 v13, v34, v17
	ds_write_b32 v27, v13 offset:2304
	v_pack_b32_f16 v13, v21, v41
	ds_write_b32 v26, v13
	v_pack_b32_f16 v13, v50, v20
	v_add_f16_e32 v42, v42, v15
	ds_write_b32 v26, v13 offset:1152
	v_pack_b32_f16 v13, v33, v18
	ds_write_b32 v26, v13 offset:2304
	v_pack_b32_f16 v13, v19, v42
	ds_write_b32 v24, v13
	v_pack_b32_f16 v13, v48, v14
	v_pack_b32_f16 v11, v32, v11
	ds_write_b32 v24, v13 offset:1152
	ds_write_b32 v24, v11 offset:2304
	s_and_saveexec_b64 s[2:3], s[0:1]
	s_cbranch_execz .LBB0_23
; %bb.22:
	v_subrev_u32_e32 v11, 18, v0
	v_cndmask_b32_e64 v11, v11, v8, s[0:1]
	v_lshlrev_b32_e32 v11, 1, v11
	v_lshlrev_b64 v[11:12], 2, v[11:12]
	v_mov_b32_e32 v13, s9
	v_add_co_u32_e64 v11, s[0:1], s8, v11
	v_addc_co_u32_e64 v12, s[0:1], v13, v12, s[0:1]
	global_load_dwordx2 v[11:12], v[11:12], off offset:1140
	s_waitcnt vmcnt(0)
	v_mul_f16_sdwa v13, v5, v12 dst_sel:DWORD dst_unused:UNUSED_PAD src0_sel:DWORD src1_sel:WORD_1
	v_mul_f16_sdwa v14, v1, v11 dst_sel:DWORD dst_unused:UNUSED_PAD src0_sel:DWORD src1_sel:WORD_1
	;; [unrolled: 1-line block ×4, first 2 shown]
	v_fma_f16 v13, v29, v12, -v13
	v_fma_f16 v7, v7, v11, -v14
	v_fma_f16 v1, v1, v11, v15
	v_fma_f16 v5, v5, v12, v16
	v_add_f16_e32 v12, v30, v1
	v_add_f16_e32 v14, v7, v13
	v_sub_f16_e32 v15, v1, v5
	v_add_f16_e32 v1, v1, v5
	v_add_f16_e32 v11, v31, v7
	v_sub_f16_e32 v7, v7, v13
	v_add_f16_e32 v5, v12, v5
	v_fma_f16 v12, v14, -0.5, v31
	v_fma_f16 v1, v1, -0.5, v30
	v_add_f16_e32 v11, v11, v13
	v_fma_f16 v13, v15, s4, v12
	v_fma_f16 v12, v15, s5, v12
	;; [unrolled: 1-line block ×4, first 2 shown]
	v_pack_b32_f16 v5, v5, v11
	v_pack_b32_f16 v1, v1, v12
	ds_write_b32 v25, v5 offset:1080
	v_pack_b32_f16 v5, v14, v13
	ds_write_b32 v25, v1 offset:2232
	ds_write_b32 v25, v5 offset:3384
.LBB0_23:
	s_or_b64 exec, exec, s[2:3]
	s_waitcnt lgkmcnt(0)
	; wave barrier
	s_waitcnt lgkmcnt(0)
	ds_read_b32 v5, v25
	v_lshlrev_b32_e32 v1, 2, v0
	v_sub_u32_e32 v14, 0, v1
	v_cmp_ne_u32_e64 s[0:1], 0, v0
                                        ; implicit-def: $vgpr16
                                        ; implicit-def: $vgpr7
                                        ; implicit-def: $vgpr15
                                        ; implicit-def: $vgpr12_vgpr13
	s_and_saveexec_b64 s[2:3], s[0:1]
	s_xor_b64 s[2:3], exec, s[2:3]
	s_cbranch_execz .LBB0_25
; %bb.24:
	v_mov_b32_e32 v1, 0
	v_lshlrev_b64 v[11:12], 2, v[0:1]
	v_mov_b32_e32 v7, s9
	v_add_co_u32_e64 v11, s[0:1], s8, v11
	v_addc_co_u32_e64 v12, s[0:1], v7, v12, s[0:1]
	global_load_dword v7, v[11:12], off offset:3444
	ds_read_b32 v11, v14 offset:3456
	s_mov_b32 s0, 0xffff
	s_waitcnt lgkmcnt(0)
	v_pk_add_f16 v12, v5, v11 neg_lo:[0,1] neg_hi:[0,1]
	v_pk_add_f16 v5, v11, v5
	v_bfi_b32 v11, s0, v12, v5
	v_pk_mul_f16 v11, v11, 0.5 op_sel_hi:[1,0]
	v_bfi_b32 v5, s0, v5, v12
	v_pk_mul_f16 v12, v5, 0.5 op_sel_hi:[1,0]
	s_waitcnt vmcnt(0)
	v_pk_mul_f16 v13, v7, v11 op_sel:[1,0]
	v_pk_mul_f16 v11, v7, v11 op_sel_hi:[0,1]
	v_pk_fma_f16 v5, v5, 0.5, v13 op_sel_hi:[1,0,1]
	v_sub_f16_e32 v7, v12, v13
	v_sub_f16_sdwa v12, v13, v12 dst_sel:DWORD dst_unused:UNUSED_PAD src0_sel:WORD_1 src1_sel:WORD_1
	v_pk_add_f16 v13, v5, v11 op_sel:[0,1] op_sel_hi:[1,0]
	v_pk_add_f16 v5, v5, v11 op_sel:[0,1] op_sel_hi:[1,0] neg_lo:[0,1] neg_hi:[0,1]
	v_sub_f16_e32 v15, v12, v11
	v_bfi_b32 v16, s0, v13, v5
	v_mov_b32_e32 v13, v1
	v_sub_f16_sdwa v7, v7, v11 dst_sel:DWORD dst_unused:UNUSED_PAD src0_sel:DWORD src1_sel:WORD_1
	v_mov_b32_e32 v12, v0
                                        ; implicit-def: $vgpr5
.LBB0_25:
	s_andn2_saveexec_b64 s[0:1], s[2:3]
	s_cbranch_execz .LBB0_27
; %bb.26:
	v_mov_b32_e32 v15, 0
	ds_read_u16 v1, v15 offset:1730
	s_waitcnt lgkmcnt(1)
	v_alignbit_b32 v11, s0, v5, 16
	v_sub_f16_sdwa v7, v5, v5 dst_sel:DWORD dst_unused:UNUSED_PAD src0_sel:DWORD src1_sel:WORD_1
	v_mov_b32_e32 v12, 0
	v_pk_add_f16 v5, v11, v5
	v_mov_b32_e32 v13, 0
	s_waitcnt lgkmcnt(0)
	v_xor_b32_e32 v1, 0x8000, v1
	v_pack_b32_f16 v16, v5, 0
	ds_write_b16 v15, v1 offset:1730
.LBB0_27:
	s_or_b64 exec, exec, s[0:1]
	s_waitcnt lgkmcnt(0)
	v_mov_b32_e32 v5, 0
	v_lshlrev_b64 v[17:18], 2, v[4:5]
	v_mov_b32_e32 v1, s9
	v_add_co_u32_e64 v17, s[0:1], s8, v17
	v_addc_co_u32_e64 v18, s[0:1], v1, v18, s[0:1]
	global_load_dword v1, v[17:18], off offset:3444
	v_mov_b32_e32 v11, v5
	v_lshlrev_b64 v[10:11], 2, v[10:11]
	v_mov_b32_e32 v4, s9
	v_add_co_u32_e64 v10, s[0:1], s8, v10
	v_addc_co_u32_e64 v11, s[0:1], v4, v11, s[0:1]
	global_load_dword v17, v[10:11], off offset:3444
	v_mov_b32_e32 v10, v5
	v_lshlrev_b64 v[9:10], 2, v[9:10]
	ds_write_b16 v14, v15 offset:3458
	ds_write_b32 v25, v16
	ds_write_b16 v14, v7 offset:3456
	v_add_co_u32_e64 v9, s[0:1], s8, v9
	v_addc_co_u32_e64 v10, s[0:1], v4, v10, s[0:1]
	global_load_dword v18, v[9:10], off offset:3444
	s_add_u32 s3, s8, 0xd74
	v_lshlrev_b64 v[10:11], 2, v[12:13]
	s_addc_u32 s0, s9, 0
	v_mov_b32_e32 v7, v5
	v_mov_b32_e32 v9, v5
	v_lshlrev_b64 v[4:5], 2, v[6:7]
	v_lshlrev_b64 v[6:7], 2, v[8:9]
	v_mov_b32_e32 v9, s0
	v_add_co_u32_e64 v8, s[0:1], s3, v10
	v_addc_co_u32_e64 v9, s[0:1], v9, v11, s[0:1]
	v_mov_b32_e32 v15, s9
	v_add_co_u32_e64 v4, s[0:1], s8, v4
	v_addc_co_u32_e64 v5, s[0:1], v15, v5, s[0:1]
	v_mov_b32_e32 v16, s9
	v_add_co_u32_e64 v6, s[0:1], s8, v6
	ds_read_b32 v12, v28
	ds_read_b32 v13, v14 offset:3240
	v_addc_co_u32_e64 v7, s[0:1], v16, v7, s[0:1]
	global_load_dword v15, v[4:5], off offset:3444
	global_load_dword v16, v[6:7], off offset:3444
	;; [unrolled: 1-line block ×4, first 2 shown]
	s_mov_b32 s2, 0xffff
	s_waitcnt lgkmcnt(0)
	v_pk_add_f16 v4, v12, v13 neg_lo:[0,1] neg_hi:[0,1]
	v_pk_add_f16 v5, v12, v13
	v_bfi_b32 v6, s2, v4, v5
	v_bfi_b32 v4, s2, v5, v4
	v_pk_mul_f16 v5, v6, 0.5 op_sel_hi:[1,0]
	v_pk_mul_f16 v4, v4, 0.5 op_sel_hi:[1,0]
	s_waitcnt vmcnt(6)
	v_pk_fma_f16 v6, v1, v5, v4 op_sel:[1,0,0]
	v_pk_mul_f16 v7, v1, v5 op_sel_hi:[0,1]
	v_pk_fma_f16 v8, v1, v5, v4 op_sel:[1,0,0] neg_lo:[1,0,0] neg_hi:[1,0,0]
	v_pk_fma_f16 v1, v1, v5, v4 op_sel:[1,0,0] neg_lo:[0,0,1] neg_hi:[0,0,1]
	v_pk_add_f16 v4, v6, v7 op_sel:[0,1] op_sel_hi:[1,0]
	v_pk_add_f16 v5, v6, v7 op_sel:[0,1] op_sel_hi:[1,0] neg_lo:[0,1] neg_hi:[0,1]
	v_pk_add_f16 v6, v8, v7 op_sel:[0,1] op_sel_hi:[1,0] neg_lo:[0,1] neg_hi:[0,1]
	v_pk_add_f16 v1, v1, v7 op_sel:[0,1] op_sel_hi:[1,0] neg_lo:[0,1] neg_hi:[0,1]
	v_bfi_b32 v4, s2, v4, v5
	v_bfi_b32 v1, s2, v6, v1
	ds_write_b32 v28, v4
	ds_write_b32 v14, v1 offset:3240
	ds_read_b32 v1, v27
	ds_read_b32 v4, v14 offset:3024
	s_waitcnt lgkmcnt(0)
	v_pk_add_f16 v5, v1, v4 neg_lo:[0,1] neg_hi:[0,1]
	v_pk_add_f16 v1, v1, v4
	v_bfi_b32 v4, s2, v5, v1
	v_bfi_b32 v1, s2, v1, v5
	v_pk_mul_f16 v4, v4, 0.5 op_sel_hi:[1,0]
	v_pk_mul_f16 v1, v1, 0.5 op_sel_hi:[1,0]
	s_waitcnt vmcnt(5)
	v_pk_fma_f16 v5, v17, v4, v1 op_sel:[1,0,0]
	v_pk_mul_f16 v6, v17, v4 op_sel_hi:[0,1]
	v_pk_fma_f16 v7, v17, v4, v1 op_sel:[1,0,0] neg_lo:[1,0,0] neg_hi:[1,0,0]
	v_pk_fma_f16 v1, v17, v4, v1 op_sel:[1,0,0] neg_lo:[0,0,1] neg_hi:[0,0,1]
	v_pk_add_f16 v4, v5, v6 op_sel:[0,1] op_sel_hi:[1,0]
	v_pk_add_f16 v5, v5, v6 op_sel:[0,1] op_sel_hi:[1,0] neg_lo:[0,1] neg_hi:[0,1]
	v_pk_add_f16 v7, v7, v6 op_sel:[0,1] op_sel_hi:[1,0] neg_lo:[0,1] neg_hi:[0,1]
	v_pk_add_f16 v1, v1, v6 op_sel:[0,1] op_sel_hi:[1,0] neg_lo:[0,1] neg_hi:[0,1]
	v_bfi_b32 v4, s2, v4, v5
	v_bfi_b32 v1, s2, v7, v1
	ds_write_b32 v27, v4
	ds_write_b32 v14, v1 offset:3024
	ds_read_b32 v1, v26
	ds_read_b32 v4, v14 offset:2808
	;; [unrolled: 22-line block ×3, first 2 shown]
	s_waitcnt lgkmcnt(0)
	v_pk_add_f16 v5, v1, v4 neg_lo:[0,1] neg_hi:[0,1]
	v_pk_add_f16 v1, v1, v4
	v_bfi_b32 v4, s2, v5, v1
	v_bfi_b32 v1, s2, v1, v5
	v_pk_mul_f16 v4, v4, 0.5 op_sel_hi:[1,0]
	v_pk_mul_f16 v1, v1, 0.5 op_sel_hi:[1,0]
	s_waitcnt vmcnt(3)
	v_pk_fma_f16 v5, v15, v4, v1 op_sel:[1,0,0]
	v_pk_mul_f16 v6, v15, v4 op_sel_hi:[0,1]
	v_pk_add_f16 v7, v5, v6 op_sel:[0,1] op_sel_hi:[1,0]
	v_pk_add_f16 v5, v5, v6 op_sel:[0,1] op_sel_hi:[1,0] neg_lo:[0,1] neg_hi:[0,1]
	v_bfi_b32 v5, s2, v7, v5
	v_pk_fma_f16 v7, v15, v4, v1 op_sel:[1,0,0] neg_lo:[1,0,0] neg_hi:[1,0,0]
	v_pk_fma_f16 v1, v15, v4, v1 op_sel:[1,0,0] neg_lo:[0,0,1] neg_hi:[0,0,1]
	v_pk_add_f16 v7, v7, v6 op_sel:[0,1] op_sel_hi:[1,0] neg_lo:[0,1] neg_hi:[0,1]
	v_pk_add_f16 v1, v1, v6 op_sel:[0,1] op_sel_hi:[1,0] neg_lo:[0,1] neg_hi:[0,1]
	v_bfi_b32 v1, s2, v7, v1
	ds_write_b32 v24, v5
	ds_write_b32 v14, v1 offset:2592
	ds_read_b32 v1, v23
	ds_read_b32 v4, v14 offset:2376
	s_waitcnt lgkmcnt(0)
	v_pk_add_f16 v5, v1, v4 neg_lo:[0,1] neg_hi:[0,1]
	v_pk_add_f16 v1, v1, v4
	v_bfi_b32 v4, s2, v5, v1
	v_bfi_b32 v1, s2, v1, v5
	v_pk_mul_f16 v4, v4, 0.5 op_sel_hi:[1,0]
	v_pk_mul_f16 v1, v1, 0.5 op_sel_hi:[1,0]
	s_waitcnt vmcnt(2)
	v_pk_fma_f16 v5, v16, v4, v1 op_sel:[1,0,0]
	v_pk_mul_f16 v6, v16, v4 op_sel_hi:[0,1]
	v_pk_add_f16 v7, v5, v6 op_sel:[0,1] op_sel_hi:[1,0]
	v_pk_add_f16 v5, v5, v6 op_sel:[0,1] op_sel_hi:[1,0] neg_lo:[0,1] neg_hi:[0,1]
	v_bfi_b32 v5, s2, v7, v5
	v_pk_fma_f16 v7, v16, v4, v1 op_sel:[1,0,0] neg_lo:[1,0,0] neg_hi:[1,0,0]
	v_pk_fma_f16 v1, v16, v4, v1 op_sel:[1,0,0] neg_lo:[0,0,1] neg_hi:[0,0,1]
	v_pk_add_f16 v7, v7, v6 op_sel:[0,1] op_sel_hi:[1,0] neg_lo:[0,1] neg_hi:[0,1]
	v_pk_add_f16 v1, v1, v6 op_sel:[0,1] op_sel_hi:[1,0] neg_lo:[0,1] neg_hi:[0,1]
	v_bfi_b32 v1, s2, v7, v1
	ds_write_b32 v23, v5
	ds_write_b32 v14, v1 offset:2376
	ds_read_b32 v1, v25 offset:1296
	ds_read_b32 v4, v14 offset:2160
	s_waitcnt lgkmcnt(0)
	v_pk_add_f16 v5, v1, v4 neg_lo:[0,1] neg_hi:[0,1]
	v_pk_add_f16 v1, v1, v4
	v_bfi_b32 v4, s2, v5, v1
	v_bfi_b32 v1, s2, v1, v5
	v_pk_mul_f16 v4, v4, 0.5 op_sel_hi:[1,0]
	v_pk_mul_f16 v1, v1, 0.5 op_sel_hi:[1,0]
	s_waitcnt vmcnt(1)
	v_pk_fma_f16 v5, v19, v4, v1 op_sel:[1,0,0]
	v_pk_mul_f16 v6, v19, v4 op_sel_hi:[0,1]
	v_pk_add_f16 v7, v5, v6 op_sel:[0,1] op_sel_hi:[1,0]
	v_pk_add_f16 v5, v5, v6 op_sel:[0,1] op_sel_hi:[1,0] neg_lo:[0,1] neg_hi:[0,1]
	v_bfi_b32 v5, s2, v7, v5
	v_pk_fma_f16 v7, v19, v4, v1 op_sel:[1,0,0] neg_lo:[1,0,0] neg_hi:[1,0,0]
	v_pk_fma_f16 v1, v19, v4, v1 op_sel:[1,0,0] neg_lo:[0,0,1] neg_hi:[0,0,1]
	v_pk_add_f16 v7, v7, v6 op_sel:[0,1] op_sel_hi:[1,0] neg_lo:[0,1] neg_hi:[0,1]
	v_pk_add_f16 v1, v1, v6 op_sel:[0,1] op_sel_hi:[1,0] neg_lo:[0,1] neg_hi:[0,1]
	v_bfi_b32 v1, s2, v7, v1
	ds_write_b32 v25, v5 offset:1296
	ds_write_b32 v14, v1 offset:2160
	ds_read_b32 v1, v25 offset:1512
	ds_read_b32 v4, v14 offset:1944
	s_waitcnt lgkmcnt(0)
	v_pk_add_f16 v5, v1, v4 neg_lo:[0,1] neg_hi:[0,1]
	v_pk_add_f16 v1, v1, v4
	v_bfi_b32 v4, s2, v5, v1
	v_bfi_b32 v1, s2, v1, v5
	v_pk_mul_f16 v4, v4, 0.5 op_sel_hi:[1,0]
	v_pk_mul_f16 v1, v1, 0.5 op_sel_hi:[1,0]
	s_waitcnt vmcnt(0)
	v_pk_fma_f16 v5, v20, v4, v1 op_sel:[1,0,0]
	v_pk_mul_f16 v6, v20, v4 op_sel_hi:[0,1]
	v_pk_add_f16 v7, v5, v6 op_sel:[0,1] op_sel_hi:[1,0]
	v_pk_add_f16 v5, v5, v6 op_sel:[0,1] op_sel_hi:[1,0] neg_lo:[0,1] neg_hi:[0,1]
	v_bfi_b32 v5, s2, v7, v5
	v_pk_fma_f16 v7, v20, v4, v1 op_sel:[1,0,0] neg_lo:[1,0,0] neg_hi:[1,0,0]
	v_pk_fma_f16 v1, v20, v4, v1 op_sel:[1,0,0] neg_lo:[0,0,1] neg_hi:[0,0,1]
	v_pk_add_f16 v7, v7, v6 op_sel:[0,1] op_sel_hi:[1,0] neg_lo:[0,1] neg_hi:[0,1]
	v_pk_add_f16 v1, v1, v6 op_sel:[0,1] op_sel_hi:[1,0] neg_lo:[0,1] neg_hi:[0,1]
	v_bfi_b32 v1, s2, v7, v1
	ds_write_b32 v25, v5 offset:1512
	ds_write_b32 v14, v1 offset:1944
	s_waitcnt lgkmcnt(0)
	; wave barrier
	s_waitcnt lgkmcnt(0)
	s_and_saveexec_b64 s[0:1], vcc
	s_cbranch_execz .LBB0_30
; %bb.28:
	ds_read2_b32 v[4:5], v25 offset1:54
	v_mov_b32_e32 v6, s13
	v_add_co_u32_e32 v1, vcc, s12, v2
	v_addc_co_u32_e32 v2, vcc, v6, v3, vcc
	ds_read2_b32 v[6:7], v25 offset0:108 offset1:162
	v_add_co_u32_e32 v8, vcc, v1, v10
	v_addc_co_u32_e32 v9, vcc, v2, v11, vcc
	s_waitcnt lgkmcnt(1)
	global_store_dword v[8:9], v4, off
	global_store_dword v[8:9], v5, off offset:216
	s_waitcnt lgkmcnt(0)
	global_store_dword v[8:9], v6, off offset:432
	v_add_u32_e32 v3, 0x200, v25
	ds_read2_b32 v[3:4], v3 offset0:88 offset1:142
	v_add_u32_e32 v10, 0x400, v25
	ds_read2_b32 v[5:6], v10 offset0:68 offset1:122
	ds_read2_b32 v[10:11], v10 offset0:176 offset1:230
	global_store_dword v[8:9], v7, off offset:648
	s_waitcnt lgkmcnt(2)
	global_store_dword v[8:9], v3, off offset:864
	global_store_dword v[8:9], v4, off offset:1080
	s_waitcnt lgkmcnt(1)
	global_store_dword v[8:9], v5, off offset:1296
	;; [unrolled: 3-line block ×3, first 2 shown]
	v_add_u32_e32 v5, 0x800, v25
	ds_read2_b32 v[3:4], v5 offset0:28 offset1:82
	ds_read2_b32 v[5:6], v5 offset0:136 offset1:190
	v_add_u32_e32 v7, 0xa00, v25
	global_store_dword v[8:9], v11, off offset:1944
	ds_read2_b32 v[10:11], v7 offset0:116 offset1:170
	v_cmp_eq_u32_e32 vcc, 53, v0
	s_waitcnt lgkmcnt(2)
	global_store_dword v[8:9], v3, off offset:2160
	global_store_dword v[8:9], v4, off offset:2376
	s_waitcnt lgkmcnt(1)
	global_store_dword v[8:9], v5, off offset:2592
	global_store_dword v[8:9], v6, off offset:2808
	;; [unrolled: 3-line block ×3, first 2 shown]
	s_and_b64 exec, exec, vcc
	s_cbranch_execz .LBB0_30
; %bb.29:
	v_mov_b32_e32 v0, 0
	ds_read_b32 v0, v0 offset:3456
	s_waitcnt lgkmcnt(0)
	global_store_dword v[1:2], v0, off offset:3456
.LBB0_30:
	s_endpgm
	.section	.rodata,"a",@progbits
	.p2align	6, 0x0
	.amdhsa_kernel fft_rtc_back_len864_factors_3_6_16_3_wgs_54_tpt_54_halfLds_half_ip_CI_unitstride_sbrr_R2C_dirReg
		.amdhsa_group_segment_fixed_size 0
		.amdhsa_private_segment_fixed_size 0
		.amdhsa_kernarg_size 88
		.amdhsa_user_sgpr_count 6
		.amdhsa_user_sgpr_private_segment_buffer 1
		.amdhsa_user_sgpr_dispatch_ptr 0
		.amdhsa_user_sgpr_queue_ptr 0
		.amdhsa_user_sgpr_kernarg_segment_ptr 1
		.amdhsa_user_sgpr_dispatch_id 0
		.amdhsa_user_sgpr_flat_scratch_init 0
		.amdhsa_user_sgpr_private_segment_size 0
		.amdhsa_uses_dynamic_stack 0
		.amdhsa_system_sgpr_private_segment_wavefront_offset 0
		.amdhsa_system_sgpr_workgroup_id_x 1
		.amdhsa_system_sgpr_workgroup_id_y 0
		.amdhsa_system_sgpr_workgroup_id_z 0
		.amdhsa_system_sgpr_workgroup_info 0
		.amdhsa_system_vgpr_workitem_id 0
		.amdhsa_next_free_vgpr 62
		.amdhsa_next_free_sgpr 22
		.amdhsa_reserve_vcc 1
		.amdhsa_reserve_flat_scratch 0
		.amdhsa_float_round_mode_32 0
		.amdhsa_float_round_mode_16_64 0
		.amdhsa_float_denorm_mode_32 3
		.amdhsa_float_denorm_mode_16_64 3
		.amdhsa_dx10_clamp 1
		.amdhsa_ieee_mode 1
		.amdhsa_fp16_overflow 0
		.amdhsa_exception_fp_ieee_invalid_op 0
		.amdhsa_exception_fp_denorm_src 0
		.amdhsa_exception_fp_ieee_div_zero 0
		.amdhsa_exception_fp_ieee_overflow 0
		.amdhsa_exception_fp_ieee_underflow 0
		.amdhsa_exception_fp_ieee_inexact 0
		.amdhsa_exception_int_div_zero 0
	.end_amdhsa_kernel
	.text
.Lfunc_end0:
	.size	fft_rtc_back_len864_factors_3_6_16_3_wgs_54_tpt_54_halfLds_half_ip_CI_unitstride_sbrr_R2C_dirReg, .Lfunc_end0-fft_rtc_back_len864_factors_3_6_16_3_wgs_54_tpt_54_halfLds_half_ip_CI_unitstride_sbrr_R2C_dirReg
                                        ; -- End function
	.section	.AMDGPU.csdata,"",@progbits
; Kernel info:
; codeLenInByte = 10256
; NumSgprs: 26
; NumVgprs: 62
; ScratchSize: 0
; MemoryBound: 0
; FloatMode: 240
; IeeeMode: 1
; LDSByteSize: 0 bytes/workgroup (compile time only)
; SGPRBlocks: 3
; VGPRBlocks: 15
; NumSGPRsForWavesPerEU: 26
; NumVGPRsForWavesPerEU: 62
; Occupancy: 4
; WaveLimiterHint : 1
; COMPUTE_PGM_RSRC2:SCRATCH_EN: 0
; COMPUTE_PGM_RSRC2:USER_SGPR: 6
; COMPUTE_PGM_RSRC2:TRAP_HANDLER: 0
; COMPUTE_PGM_RSRC2:TGID_X_EN: 1
; COMPUTE_PGM_RSRC2:TGID_Y_EN: 0
; COMPUTE_PGM_RSRC2:TGID_Z_EN: 0
; COMPUTE_PGM_RSRC2:TIDIG_COMP_CNT: 0
	.type	__hip_cuid_d487040825a4863b,@object ; @__hip_cuid_d487040825a4863b
	.section	.bss,"aw",@nobits
	.globl	__hip_cuid_d487040825a4863b
__hip_cuid_d487040825a4863b:
	.byte	0                               ; 0x0
	.size	__hip_cuid_d487040825a4863b, 1

	.ident	"AMD clang version 19.0.0git (https://github.com/RadeonOpenCompute/llvm-project roc-6.4.0 25133 c7fe45cf4b819c5991fe208aaa96edf142730f1d)"
	.section	".note.GNU-stack","",@progbits
	.addrsig
	.addrsig_sym __hip_cuid_d487040825a4863b
	.amdgpu_metadata
---
amdhsa.kernels:
  - .args:
      - .actual_access:  read_only
        .address_space:  global
        .offset:         0
        .size:           8
        .value_kind:     global_buffer
      - .offset:         8
        .size:           8
        .value_kind:     by_value
      - .actual_access:  read_only
        .address_space:  global
        .offset:         16
        .size:           8
        .value_kind:     global_buffer
      - .actual_access:  read_only
        .address_space:  global
        .offset:         24
        .size:           8
        .value_kind:     global_buffer
      - .offset:         32
        .size:           8
        .value_kind:     by_value
      - .actual_access:  read_only
        .address_space:  global
        .offset:         40
        .size:           8
        .value_kind:     global_buffer
      - .actual_access:  read_only
        .address_space:  global
        .offset:         48
        .size:           8
        .value_kind:     global_buffer
      - .offset:         56
        .size:           4
        .value_kind:     by_value
      - .actual_access:  read_only
        .address_space:  global
        .offset:         64
        .size:           8
        .value_kind:     global_buffer
      - .actual_access:  read_only
        .address_space:  global
        .offset:         72
        .size:           8
        .value_kind:     global_buffer
      - .address_space:  global
        .offset:         80
        .size:           8
        .value_kind:     global_buffer
    .group_segment_fixed_size: 0
    .kernarg_segment_align: 8
    .kernarg_segment_size: 88
    .language:       OpenCL C
    .language_version:
      - 2
      - 0
    .max_flat_workgroup_size: 54
    .name:           fft_rtc_back_len864_factors_3_6_16_3_wgs_54_tpt_54_halfLds_half_ip_CI_unitstride_sbrr_R2C_dirReg
    .private_segment_fixed_size: 0
    .sgpr_count:     26
    .sgpr_spill_count: 0
    .symbol:         fft_rtc_back_len864_factors_3_6_16_3_wgs_54_tpt_54_halfLds_half_ip_CI_unitstride_sbrr_R2C_dirReg.kd
    .uniform_work_group_size: 1
    .uses_dynamic_stack: false
    .vgpr_count:     62
    .vgpr_spill_count: 0
    .wavefront_size: 64
amdhsa.target:   amdgcn-amd-amdhsa--gfx906
amdhsa.version:
  - 1
  - 2
...

	.end_amdgpu_metadata
